;; amdgpu-corpus repo=ROCm/rocFFT kind=compiled arch=gfx906 opt=O3
	.text
	.amdgcn_target "amdgcn-amd-amdhsa--gfx906"
	.amdhsa_code_object_version 6
	.protected	bluestein_single_back_len330_dim1_half_op_CI_CI ; -- Begin function bluestein_single_back_len330_dim1_half_op_CI_CI
	.globl	bluestein_single_back_len330_dim1_half_op_CI_CI
	.p2align	8
	.type	bluestein_single_back_len330_dim1_half_op_CI_CI,@function
bluestein_single_back_len330_dim1_half_op_CI_CI: ; @bluestein_single_back_len330_dim1_half_op_CI_CI
; %bb.0:
	v_mul_u32_u24_e32 v1, 0x7c2, v0
	s_load_dwordx4 s[0:3], s[4:5], 0x28
	v_lshrrev_b32_e32 v1, 16, v1
	v_mad_u64_u32 v[8:9], s[6:7], s6, 3, v[1:2]
	v_mov_b32_e32 v9, 0
	s_waitcnt lgkmcnt(0)
	v_cmp_gt_u64_e32 vcc, s[0:1], v[8:9]
	s_and_saveexec_b64 s[0:1], vcc
	s_cbranch_execz .LBB0_23
; %bb.1:
	s_mov_b32 s0, 0xaaaaaaab
	v_mul_hi_u32 v2, v8, s0
	v_mul_lo_u16_e32 v1, 33, v1
	s_load_dwordx2 s[6:7], s[4:5], 0x0
	s_load_dwordx2 s[12:13], s[4:5], 0x38
	v_sub_u16_e32 v30, v0, v1
	v_lshrrev_b32_e32 v0, 1, v2
	v_lshl_add_u32 v0, v0, 1, v0
	v_sub_u32_e32 v0, v8, v0
	v_mul_u32_u24_e32 v31, 0x14a, v0
	v_cmp_gt_u16_e64 s[0:1], 30, v30
	v_lshlrev_b32_e32 v29, 2, v30
	v_lshlrev_b32_e32 v32, 2, v31
	s_and_saveexec_b64 s[14:15], s[0:1]
	s_cbranch_execz .LBB0_3
; %bb.2:
	s_load_dwordx2 s[8:9], s[4:5], 0x18
	s_waitcnt lgkmcnt(0)
	s_load_dwordx4 s[8:11], s[8:9], 0x0
	s_waitcnt lgkmcnt(0)
	v_mad_u64_u32 v[0:1], s[16:17], s10, v8, 0
	v_mad_u64_u32 v[2:3], s[16:17], s8, v30, 0
	;; [unrolled: 1-line block ×4, first 2 shown]
	v_mov_b32_e32 v1, v4
	v_lshlrev_b64 v[0:1], 2, v[0:1]
	v_mov_b32_e32 v3, v5
	v_mov_b32_e32 v6, s3
	v_lshlrev_b64 v[2:3], 2, v[2:3]
	v_add_co_u32_e32 v0, vcc, s2, v0
	v_addc_co_u32_e32 v1, vcc, v6, v1, vcc
	v_add_co_u32_e32 v0, vcc, v0, v2
	s_mul_i32 s2, s9, 0x78
	s_mul_hi_u32 s3, s8, 0x78
	v_addc_co_u32_e32 v1, vcc, v1, v3, vcc
	s_mulk_i32 s8, 0x78
	s_add_i32 s2, s3, s2
	global_load_dword v2, v[0:1], off
	global_load_dword v3, v29, s[6:7]
	global_load_dword v4, v29, s[6:7] offset:120
	global_load_dword v5, v29, s[6:7] offset:240
	;; [unrolled: 1-line block ×3, first 2 shown]
	v_mov_b32_e32 v7, s2
	v_add_co_u32_e32 v0, vcc, s8, v0
	v_addc_co_u32_e32 v1, vcc, v1, v7, vcc
	global_load_dword v7, v[0:1], off
	v_mov_b32_e32 v9, s2
	v_add_co_u32_e32 v0, vcc, s8, v0
	v_addc_co_u32_e32 v1, vcc, v1, v9, vcc
	global_load_dword v9, v[0:1], off
	;; [unrolled: 4-line block ×4, first 2 shown]
	global_load_dword v12, v29, s[6:7] offset:480
	global_load_dword v13, v29, s[6:7] offset:600
	;; [unrolled: 1-line block ×4, first 2 shown]
	v_mov_b32_e32 v16, s2
	v_add_co_u32_e32 v0, vcc, s8, v0
	v_addc_co_u32_e32 v1, vcc, v1, v16, vcc
	global_load_dword v16, v[0:1], off
	v_mov_b32_e32 v17, s2
	v_add_co_u32_e32 v0, vcc, s8, v0
	v_addc_co_u32_e32 v1, vcc, v1, v17, vcc
	global_load_dword v17, v[0:1], off
	global_load_dword v18, v29, s[6:7] offset:960
	v_mov_b32_e32 v19, s2
	v_add_co_u32_e32 v0, vcc, s8, v0
	v_addc_co_u32_e32 v1, vcc, v1, v19, vcc
	global_load_dword v19, v[0:1], off
	v_mov_b32_e32 v20, s2
	v_add_co_u32_e32 v0, vcc, s8, v0
	v_addc_co_u32_e32 v1, vcc, v1, v20, vcc
	global_load_dword v20, v[0:1], off
	;; [unrolled: 4-line block ×3, first 2 shown]
	global_load_dword v23, v29, s[6:7] offset:1080
	v_add_co_u32_e32 v0, vcc, s8, v0
	v_addc_co_u32_e32 v1, vcc, v1, v21, vcc
	global_load_dword v21, v[0:1], off
	global_load_dword v24, v29, s[6:7] offset:1200
	v_lshl_add_u32 v0, v30, 2, v32
	s_waitcnt vmcnt(21)
	v_lshrrev_b32_e32 v1, 16, v2
	s_waitcnt vmcnt(20)
	v_mul_f16_sdwa v25, v3, v2 dst_sel:DWORD dst_unused:UNUSED_PAD src0_sel:WORD_1 src1_sel:DWORD
	v_fma_f16 v25, v3, v1, -v25
	v_mul_f16_sdwa v1, v3, v1 dst_sel:DWORD dst_unused:UNUSED_PAD src0_sel:WORD_1 src1_sel:DWORD
	v_fma_f16 v1, v3, v2, v1
	v_pack_b32_f16 v1, v1, v25
	ds_write_b32 v0, v1
	v_add_u32_e32 v2, v32, v29
	s_waitcnt vmcnt(16)
	v_lshrrev_b32_e32 v0, 16, v7
	v_mul_f16_sdwa v1, v4, v0 dst_sel:DWORD dst_unused:UNUSED_PAD src0_sel:WORD_1 src1_sel:DWORD
	v_mul_f16_sdwa v3, v4, v7 dst_sel:DWORD dst_unused:UNUSED_PAD src0_sel:WORD_1 src1_sel:DWORD
	v_fma_f16 v1, v4, v7, v1
	v_fma_f16 v0, v4, v0, -v3
	v_pack_b32_f16 v0, v1, v0
	s_waitcnt vmcnt(15)
	v_lshrrev_b32_e32 v1, 16, v9
	v_mul_f16_sdwa v3, v5, v1 dst_sel:DWORD dst_unused:UNUSED_PAD src0_sel:WORD_1 src1_sel:DWORD
	v_mul_f16_sdwa v4, v5, v9 dst_sel:DWORD dst_unused:UNUSED_PAD src0_sel:WORD_1 src1_sel:DWORD
	v_fma_f16 v3, v5, v9, v3
	v_fma_f16 v1, v5, v1, -v4
	v_pack_b32_f16 v1, v3, v1
	ds_write2_b32 v2, v0, v1 offset0:30 offset1:60
	s_waitcnt vmcnt(14)
	v_lshrrev_b32_e32 v0, 16, v10
	v_mul_f16_sdwa v1, v6, v0 dst_sel:DWORD dst_unused:UNUSED_PAD src0_sel:WORD_1 src1_sel:DWORD
	v_mul_f16_sdwa v3, v6, v10 dst_sel:DWORD dst_unused:UNUSED_PAD src0_sel:WORD_1 src1_sel:DWORD
	v_fma_f16 v1, v6, v10, v1
	v_fma_f16 v0, v6, v0, -v3
	v_pack_b32_f16 v0, v1, v0
	s_waitcnt vmcnt(13)
	v_lshrrev_b32_e32 v1, 16, v11
	s_waitcnt vmcnt(12)
	v_mul_f16_sdwa v3, v12, v1 dst_sel:DWORD dst_unused:UNUSED_PAD src0_sel:WORD_1 src1_sel:DWORD
	v_mul_f16_sdwa v4, v12, v11 dst_sel:DWORD dst_unused:UNUSED_PAD src0_sel:WORD_1 src1_sel:DWORD
	v_fma_f16 v3, v12, v11, v3
	v_fma_f16 v1, v12, v1, -v4
	v_pack_b32_f16 v1, v3, v1
	ds_write2_b32 v2, v0, v1 offset0:90 offset1:120
	s_waitcnt vmcnt(8)
	v_lshrrev_b32_e32 v0, 16, v16
	v_mul_f16_sdwa v1, v13, v0 dst_sel:DWORD dst_unused:UNUSED_PAD src0_sel:WORD_1 src1_sel:DWORD
	v_mul_f16_sdwa v3, v13, v16 dst_sel:DWORD dst_unused:UNUSED_PAD src0_sel:WORD_1 src1_sel:DWORD
	v_fma_f16 v1, v13, v16, v1
	v_fma_f16 v0, v13, v0, -v3
	v_pack_b32_f16 v0, v1, v0
	s_waitcnt vmcnt(7)
	v_lshrrev_b32_e32 v1, 16, v17
	v_mul_f16_sdwa v3, v14, v1 dst_sel:DWORD dst_unused:UNUSED_PAD src0_sel:WORD_1 src1_sel:DWORD
	v_mul_f16_sdwa v4, v14, v17 dst_sel:DWORD dst_unused:UNUSED_PAD src0_sel:WORD_1 src1_sel:DWORD
	v_fma_f16 v3, v14, v17, v3
	v_fma_f16 v1, v14, v1, -v4
	v_pack_b32_f16 v1, v3, v1
	ds_write2_b32 v2, v0, v1 offset0:150 offset1:180
	s_waitcnt vmcnt(5)
	v_lshrrev_b32_e32 v0, 16, v19
	v_mul_f16_sdwa v1, v15, v0 dst_sel:DWORD dst_unused:UNUSED_PAD src0_sel:WORD_1 src1_sel:DWORD
	v_mul_f16_sdwa v3, v15, v19 dst_sel:DWORD dst_unused:UNUSED_PAD src0_sel:WORD_1 src1_sel:DWORD
	v_fma_f16 v1, v15, v19, v1
	v_fma_f16 v0, v15, v0, -v3
	v_pack_b32_f16 v0, v1, v0
	s_waitcnt vmcnt(4)
	v_lshrrev_b32_e32 v1, 16, v20
	v_mul_f16_sdwa v3, v18, v1 dst_sel:DWORD dst_unused:UNUSED_PAD src0_sel:WORD_1 src1_sel:DWORD
	v_mul_f16_sdwa v4, v18, v20 dst_sel:DWORD dst_unused:UNUSED_PAD src0_sel:WORD_1 src1_sel:DWORD
	v_fma_f16 v3, v18, v20, v3
	v_fma_f16 v1, v18, v1, -v4
	v_pack_b32_f16 v1, v3, v1
	ds_write2_b32 v2, v0, v1 offset0:210 offset1:240
	s_waitcnt vmcnt(3)
	v_lshrrev_b32_e32 v0, 16, v22
	s_waitcnt vmcnt(2)
	v_mul_f16_sdwa v1, v23, v0 dst_sel:DWORD dst_unused:UNUSED_PAD src0_sel:WORD_1 src1_sel:DWORD
	v_mul_f16_sdwa v3, v23, v22 dst_sel:DWORD dst_unused:UNUSED_PAD src0_sel:WORD_1 src1_sel:DWORD
	v_fma_f16 v1, v23, v22, v1
	v_fma_f16 v0, v23, v0, -v3
	v_pack_b32_f16 v0, v1, v0
	s_waitcnt vmcnt(1)
	v_lshrrev_b32_e32 v1, 16, v21
	s_waitcnt vmcnt(0)
	v_mul_f16_sdwa v3, v24, v1 dst_sel:DWORD dst_unused:UNUSED_PAD src0_sel:WORD_1 src1_sel:DWORD
	v_mul_f16_sdwa v4, v24, v21 dst_sel:DWORD dst_unused:UNUSED_PAD src0_sel:WORD_1 src1_sel:DWORD
	v_fma_f16 v3, v24, v21, v3
	v_fma_f16 v1, v24, v1, -v4
	v_pack_b32_f16 v1, v3, v1
	v_add_u32_e32 v2, 0x400, v2
	ds_write2_b32 v2, v0, v1 offset0:14 offset1:44
.LBB0_3:
	s_or_b64 exec, exec, s[14:15]
	s_load_dwordx2 s[2:3], s[4:5], 0x20
	s_load_dwordx2 s[14:15], s[4:5], 0x8
	v_mov_b32_e32 v0, 0
	s_waitcnt lgkmcnt(0)
	s_barrier
	s_waitcnt lgkmcnt(0)
                                        ; implicit-def: $vgpr15
                                        ; implicit-def: $vgpr3
                                        ; implicit-def: $vgpr5
                                        ; implicit-def: $vgpr7
                                        ; implicit-def: $vgpr10
	s_and_saveexec_b64 s[4:5], s[0:1]
	s_cbranch_execz .LBB0_5
; %bb.4:
	v_lshl_add_u32 v11, v31, 2, v29
	ds_read2_b32 v[0:1], v11 offset1:30
	ds_read2_b32 v[9:10], v11 offset0:60 offset1:90
	ds_read2_b32 v[6:7], v11 offset0:120 offset1:150
	ds_read2_b32 v[4:5], v11 offset0:180 offset1:210
	v_add_u32_e32 v2, 0x200, v11
	ds_read2_b32 v[2:3], v2 offset0:112 offset1:142
	ds_read_b32 v15, v11 offset:1200
.LBB0_5:
	s_or_b64 exec, exec, s[4:5]
	s_waitcnt lgkmcnt(0)
	v_pk_add_f16 v11, v1, v15 neg_lo:[0,1] neg_hi:[0,1]
	s_mov_b32 s21, 0xb853
	v_pk_add_f16 v14, v15, v1
	s_movk_i32 s9, 0x3abb
	v_mul_f16_sdwa v26, v11, s21 dst_sel:DWORD dst_unused:UNUSED_PAD src0_sel:WORD_1 src1_sel:DWORD
	v_lshrrev_b32_e32 v23, 16, v14
	v_mul_f16_e32 v37, 0xb853, v11
	v_fma_f16 v12, v14, s9, v26
	v_add_f16_e32 v13, v12, v0
	v_fma_f16 v12, v23, s9, -v37
	v_add_f16_sdwa v17, v12, v0 dst_sel:DWORD dst_unused:UNUSED_PAD src0_sel:DWORD src1_sel:WORD_1
	v_pk_add_f16 v12, v9, v3 neg_lo:[0,1] neg_hi:[0,1]
	s_mov_b32 s20, 0xbb47
	v_pk_add_f16 v16, v3, v9
	s_movk_i32 s10, 0x36a6
	v_mul_f16_sdwa v35, v12, s20 dst_sel:DWORD dst_unused:UNUSED_PAD src0_sel:WORD_1 src1_sel:DWORD
	v_lshrrev_b32_e32 v24, 16, v16
	v_mul_f16_e32 v38, 0xbb47, v12
	v_fma_f16 v18, v16, s10, v35
	v_add_f16_e32 v18, v18, v13
	v_fma_f16 v13, v24, s10, -v38
	v_add_f16_e32 v17, v13, v17
	v_pk_add_f16 v13, v10, v2 neg_lo:[0,1] neg_hi:[0,1]
	s_mov_b32 s8, 0xbbeb
	v_pk_add_f16 v19, v2, v10
	s_mov_b32 s11, 0xb08e
	v_mul_f16_sdwa v36, v13, s8 dst_sel:DWORD dst_unused:UNUSED_PAD src0_sel:WORD_1 src1_sel:DWORD
	v_fma_f16 v20, v19, s11, v36
	v_lshrrev_b32_e32 v25, 16, v19
	v_mul_f16_e32 v40, 0xbbeb, v13
	v_add_f16_e32 v18, v20, v18
	v_fma_f16 v20, v25, s11, -v40
	v_add_f16_e32 v20, v20, v17
	s_mov_b32 s16, 0xba0c
	v_pk_add_f16 v17, v6, v5 neg_lo:[0,1] neg_hi:[0,1]
	s_mov_b32 s17, 0xb93d
	v_pk_add_f16 v21, v5, v6
	v_mul_f16_sdwa v39, v17, s16 dst_sel:DWORD dst_unused:UNUSED_PAD src0_sel:WORD_1 src1_sel:DWORD
	v_fma_f16 v22, v21, s17, v39
	v_lshrrev_b32_e32 v27, 16, v21
	v_mul_f16_e32 v42, 0xba0c, v17
	v_add_f16_e32 v18, v22, v18
	v_fma_f16 v22, v27, s17, -v42
	v_add_f16_e32 v28, v22, v20
	v_pk_add_f16 v22, v4, v7
	v_pk_add_f16 v20, v7, v4 neg_lo:[0,1] neg_hi:[0,1]
	s_mov_b32 s19, 0xbbad
	v_lshrrev_b32_e32 v34, 16, v22
	v_mul_f16_e32 v43, 0xb482, v20
	s_mov_b32 s18, 0xb482
	v_fma_f16 v33, v34, s19, -v43
	v_mul_f16_sdwa v41, v20, s18 dst_sel:DWORD dst_unused:UNUSED_PAD src0_sel:WORD_1 src1_sel:DWORD
	v_add_f16_e32 v28, v33, v28
	v_fma_f16 v33, v22, s19, v41
	v_add_f16_e32 v18, v33, v18
	v_mul_lo_u16_e32 v33, 11, v30
	s_barrier
	s_and_saveexec_b64 s[4:5], s[0:1]
	s_cbranch_execz .LBB0_7
; %bb.6:
	v_mul_f16_e32 v44, 0xba0c, v11
	v_pk_add_f16 v1, v1, v0
	v_fma_f16 v45, v23, s17, v44
	v_pk_add_f16 v1, v9, v1
	v_mul_f16_e32 v9, 0x3beb, v12
	v_add_f16_sdwa v45, v45, v0 dst_sel:DWORD dst_unused:UNUSED_PAD src0_sel:DWORD src1_sel:WORD_1
	v_pk_add_f16 v1, v10, v1
	v_fma_f16 v10, v24, s11, v9
	v_add_f16_e32 v10, v10, v45
	v_mul_f16_e32 v45, 0xb853, v13
	v_fma_f16 v46, v25, s9, v45
	v_pk_add_f16 v1, v6, v1
	v_mul_f16_e32 v6, 0xb482, v17
	v_add_f16_e32 v10, v46, v10
	v_pk_add_f16 v1, v7, v1
	v_fma_f16 v7, v27, s19, v6
	v_add_f16_e32 v7, v7, v10
	s_movk_i32 s22, 0x3b47
	v_mul_f16_e32 v10, 0x36a6, v34
	v_fma_f16 v46, v20, s22, v10
	v_add_f16_e32 v7, v46, v7
	s_movk_i32 s23, 0x3beb
	v_mul_f16_sdwa v46, v11, s16 dst_sel:DWORD dst_unused:UNUSED_PAD src0_sel:WORD_1 src1_sel:DWORD
	v_fma_f16 v47, v14, s17, -v46
	v_mul_f16_sdwa v48, v12, s23 dst_sel:DWORD dst_unused:UNUSED_PAD src0_sel:WORD_1 src1_sel:DWORD
	v_add_f16_e32 v47, v47, v0
	v_fma_f16 v49, v16, s11, -v48
	v_add_f16_e32 v47, v49, v47
	v_mul_f16_sdwa v49, v13, s21 dst_sel:DWORD dst_unused:UNUSED_PAD src0_sel:WORD_1 src1_sel:DWORD
	v_fma_f16 v50, v19, s9, -v49
	v_add_f16_e32 v47, v50, v47
	v_mul_f16_sdwa v50, v17, s18 dst_sel:DWORD dst_unused:UNUSED_PAD src0_sel:WORD_1 src1_sel:DWORD
	v_fma_f16 v51, v21, s19, -v50
	v_add_f16_e32 v47, v51, v47
	v_mul_f16_sdwa v51, v20, s22 dst_sel:DWORD dst_unused:UNUSED_PAD src0_sel:WORD_1 src1_sel:DWORD
	v_fma_f16 v52, v22, s10, -v51
	v_add_f16_e32 v47, v52, v47
	v_mul_f16_e32 v52, 0xbbeb, v11
	v_fma_f16 v53, v23, s11, v52
	v_mul_f16_e32 v54, 0x3482, v12
	v_add_f16_sdwa v53, v53, v0 dst_sel:DWORD dst_unused:UNUSED_PAD src0_sel:DWORD src1_sel:WORD_1
	v_fma_f16 v55, v24, s19, v54
	v_add_f16_e32 v53, v55, v53
	v_mul_f16_e32 v55, 0x3b47, v13
	v_fma_f16 v56, v25, s10, v55
	v_add_f16_e32 v53, v56, v53
	v_mul_f16_e32 v56, 0xb853, v17
	;; [unrolled: 3-line block ×3, first 2 shown]
	v_fma_f16 v58, v34, s17, v57
	v_add_f16_e32 v53, v58, v53
	v_mul_f16_sdwa v58, v11, s20 dst_sel:DWORD dst_unused:UNUSED_PAD src0_sel:WORD_1 src1_sel:DWORD
	v_fma_f16 v59, v14, s10, -v58
	v_mul_f16_sdwa v60, v12, s16 dst_sel:DWORD dst_unused:UNUSED_PAD src0_sel:WORD_1 src1_sel:DWORD
	v_add_f16_e32 v59, v59, v0
	v_fma_f16 v61, v16, s17, -v60
	s_movk_i32 s20, 0x3482
	v_add_f16_e32 v59, v61, v59
	v_mul_f16_sdwa v61, v13, s20 dst_sel:DWORD dst_unused:UNUSED_PAD src0_sel:WORD_1 src1_sel:DWORD
	v_fma_f16 v62, v19, s19, -v61
	v_add_f16_e32 v59, v62, v59
	v_mul_f16_sdwa v62, v17, s23 dst_sel:DWORD dst_unused:UNUSED_PAD src0_sel:WORD_1 src1_sel:DWORD
	v_fma_f16 v63, v21, s11, -v62
	s_movk_i32 s20, 0x3853
	v_add_f16_e32 v59, v63, v59
	v_mul_f16_sdwa v63, v20, s20 dst_sel:DWORD dst_unused:UNUSED_PAD src0_sel:WORD_1 src1_sel:DWORD
	v_fma_f16 v64, v22, s9, -v63
	v_add_f16_e32 v59, v64, v59
	v_mul_f16_e32 v64, 0x3abb, v23
	v_add_f16_e32 v37, v37, v64
	v_mul_f16_e32 v64, 0x36a6, v24
	v_add_f16_e32 v38, v38, v64
	v_add_f16_sdwa v37, v37, v0 dst_sel:DWORD dst_unused:UNUSED_PAD src0_sel:DWORD src1_sel:WORD_1
	v_add_f16_e32 v37, v38, v37
	v_mul_f16_e32 v38, 0xb08e, v25
	v_add_f16_e32 v38, v40, v38
	v_add_f16_e32 v37, v38, v37
	v_mul_f16_e32 v38, 0xb93d, v27
	v_add_f16_e32 v38, v42, v38
	;; [unrolled: 3-line block ×3, first 2 shown]
	v_add_f16_e32 v37, v38, v37
	v_mul_f16_e32 v38, 0x3abb, v14
	v_sub_f16_e32 v26, v38, v26
	v_mul_f16_e32 v38, 0x36a6, v16
	v_sub_f16_e32 v35, v38, v35
	v_add_f16_e32 v26, v26, v0
	v_add_f16_e32 v26, v35, v26
	v_mul_f16_e32 v35, 0xb08e, v19
	v_sub_f16_e32 v35, v35, v36
	v_add_f16_e32 v26, v35, v26
	v_mul_f16_e32 v35, 0xb93d, v21
	v_sub_f16_e32 v35, v35, v39
	;; [unrolled: 3-line block ×3, first 2 shown]
	v_add_f16_e32 v26, v35, v26
	v_fma_f16 v35, v23, s17, -v44
	v_add_f16_sdwa v35, v35, v0 dst_sel:DWORD dst_unused:UNUSED_PAD src0_sel:DWORD src1_sel:WORD_1
	v_fma_f16 v9, v24, s11, -v9
	v_add_f16_e32 v9, v9, v35
	v_fma_f16 v35, v25, s9, -v45
	v_add_f16_e32 v9, v35, v9
	v_fma_f16 v35, v14, s17, v46
	v_fma_f16 v23, v23, s11, -v52
	v_add_f16_e32 v35, v35, v0
	v_fma_f16 v36, v16, s11, v48
	v_fma_f16 v24, v24, s19, -v54
	v_add_f16_sdwa v23, v23, v0 dst_sel:DWORD dst_unused:UNUSED_PAD src0_sel:DWORD src1_sel:WORD_1
	v_pk_add_f16 v1, v4, v1
	v_add_f16_e32 v35, v36, v35
	v_fma_f16 v36, v19, s9, v49
	v_add_f16_e32 v23, v24, v23
	v_fma_f16 v24, v25, s10, -v55
	s_mov_b32 s21, 0x36a6b08e
	v_pk_add_f16 v1, v5, v1
	v_add_f16_e32 v35, v36, v35
	v_fma_f16 v36, v21, s19, v50
	v_add_f16_e32 v23, v24, v23
	v_fma_f16 v6, v27, s19, -v6
	v_fma_f16 v25, v27, s9, -v56
	v_pk_mul_f16 v27, v14, s21
	s_mov_b32 s21, 0xbbebbb47
	s_mov_b32 s23, 0xb93dbbad
	v_pk_add_f16 v1, v2, v1
	v_add_f16_e32 v35, v36, v35
	v_fma_f16 v36, v22, s10, v51
	v_add_f16_e32 v23, v25, v23
	v_pk_mul_f16 v25, v16, s23
	s_mov_b32 s23, 0x3482ba0c
	s_mov_b32 s24, 0xbbad36a6
	v_pk_fma_f16 v4, v11, s21, v27 op_sel:[0,0,1] op_sel_hi:[1,1,0]
	v_pk_add_f16 v1, v3, v1
	v_add_f16_e32 v35, v36, v35
	v_pk_mul_f16 v36, v19, s24
	s_mov_b32 s24, 0x3b473482
	v_alignbit_b32 v5, s0, v4, 16
	v_pk_fma_f16 v2, v12, s23, v25 op_sel:[0,0,1] op_sel_hi:[1,1,0]
	v_pk_add_f16 v1, v15, v1
	v_pack_b32_f16 v26, v26, v37
	v_add_lshl_u32 v37, v31, v33, 2
	v_pk_fma_f16 v27, v11, s21, v27 op_sel:[0,0,1] op_sel_hi:[1,1,0] neg_lo:[1,0,0] neg_hi:[1,0,0]
	s_mov_b32 s21, 0xffff
	v_fma_f16 v34, v34, s17, -v57
	s_mov_b32 s25, 0xb08e3abb
	v_pk_add_f16 v5, v5, v0
	v_alignbit_b32 v3, s0, v2, 16
	ds_write2_b32 v37, v1, v26 offset1:1
	v_pk_fma_f16 v1, v13, s24, v36 op_sel:[0,0,1] op_sel_hi:[1,1,0]
	v_pk_fma_f16 v25, v12, s23, v25 op_sel:[0,0,1] op_sel_hi:[1,1,0] neg_lo:[1,0,0] neg_hi:[1,0,0]
	v_bfi_b32 v4, s21, v4, v27
	v_add_f16_e32 v23, v34, v23
	v_pk_mul_f16 v34, v21, s25
	s_mov_b32 s25, 0xb8533beb
	v_pk_add_f16 v3, v3, v5
	v_alignbit_b32 v26, s0, v1, 16
	v_fma_f16 v38, v14, s10, v58
	v_pk_fma_f16 v36, v13, s24, v36 op_sel:[0,0,1] op_sel_hi:[1,1,0] neg_lo:[1,0,0] neg_hi:[1,0,0]
	v_pk_add_f16 v4, v4, v0 op_sel:[0,1] op_sel_hi:[1,0]
	v_bfi_b32 v2, s21, v2, v25
	s_mov_b32 s26, 0x3abbb93d
	v_pk_add_f16 v3, v26, v3
	v_pk_fma_f16 v26, v17, s25, v34 op_sel:[0,0,1] op_sel_hi:[1,1,0]
	v_add_f16_e32 v38, v38, v0
	v_fma_f16 v39, v16, s17, v60
	v_pk_fma_f16 v34, v17, s25, v34 op_sel:[0,0,1] op_sel_hi:[1,1,0] neg_lo:[1,0,0] neg_hi:[1,0,0]
	v_pk_add_f16 v2, v2, v4
	v_bfi_b32 v1, s21, v1, v36
	v_pk_mul_f16 v5, v22, s26
	s_mov_b32 s26, 0xba0c3853
	v_add_f16_e32 v38, v39, v38
	v_fma_f16 v40, v19, s19, v61
	v_pk_add_f16 v1, v1, v2
	v_bfi_b32 v2, s21, v26, v34
	v_add_f16_e32 v38, v40, v38
	v_pk_fma_f16 v40, v20, s26, v5 op_sel:[0,0,1] op_sel_hi:[1,1,0] neg_lo:[1,0,0] neg_hi:[1,0,0]
	v_pk_add_f16 v1, v2, v1
	v_pk_fma_f16 v2, v20, s26, v5 op_sel:[0,0,1] op_sel_hi:[1,1,0]
	v_bfi_b32 v2, s21, v2, v40
	v_pk_add_f16 v1, v2, v1
	v_alignbit_b32 v2, v53, v1, 16
	v_pack_b32_f16 v1, v59, v1
	ds_write2_b32 v37, v1, v2 offset0:2 offset1:3
	v_pack_b32_f16 v1, v47, v7
	ds_write_b32 v37, v1 offset:16
	v_pk_mul_f16 v1, v14, s19 op_sel_hi:[1,0]
	v_pk_fma_f16 v2, v11, s18, v1 op_sel:[0,0,1] op_sel_hi:[1,0,0] neg_lo:[1,0,0] neg_hi:[1,0,0]
	v_pk_mul_f16 v7, v16, s9 op_sel_hi:[1,0]
	v_alignbit_b32 v4, s0, v2, 16
	v_pk_fma_f16 v14, v12, s20, v7 op_sel:[0,0,1] op_sel_hi:[1,0,0] neg_lo:[1,0,0] neg_hi:[1,0,0]
	v_pk_add_f16 v4, v4, v0
	v_alignbit_b32 v16, s0, v14, 16
	v_fma_f16 v41, v21, s11, v62
	v_pk_add_f16 v4, v16, v4
	v_pk_mul_f16 v16, v19, s17 op_sel_hi:[1,0]
	v_add_f16_e32 v38, v41, v38
	v_add_f16_sdwa v41, v27, v0 dst_sel:DWORD dst_unused:UNUSED_PAD src0_sel:DWORD src1_sel:WORD_1
	v_pk_fma_f16 v19, v13, s16, v16 op_sel:[0,0,1] op_sel_hi:[1,0,0] neg_lo:[1,0,0] neg_hi:[1,0,0]
	v_alignbit_b32 v39, s0, v0, 16
	v_add_f16_e32 v41, v25, v41
	v_alignbit_b32 v25, s0, v19, 16
	v_pk_mul_f16 v21, v21, s10 op_sel_hi:[1,0]
	v_pk_fma_f16 v1, v11, s18, v1 op_sel:[0,0,1] op_sel_hi:[1,0,0]
	v_pk_add_f16 v4, v25, v4
	v_pk_fma_f16 v25, v17, s22, v21 op_sel:[0,0,1] op_sel_hi:[1,0,0] neg_lo:[1,0,0] neg_hi:[1,0,0]
	v_pk_add_f16 v2, v2, v39
	v_pk_add_f16 v0, v1, v0 op_sel:[0,1] op_sel_hi:[1,0]
	v_pk_fma_f16 v1, v12, s20, v7 op_sel:[0,0,1] op_sel_hi:[1,0,0]
	v_fma_f16 v42, v22, s9, v63
	v_alignbit_b32 v27, s0, v25, 16
	v_pk_mul_f16 v22, v22, s11 op_sel_hi:[1,0]
	v_pk_add_f16 v2, v14, v2
	v_pk_add_f16 v0, v1, v0
	v_pk_fma_f16 v1, v13, s16, v16 op_sel:[0,0,1] op_sel_hi:[1,0,0]
	v_add_f16_e32 v41, v36, v41
	v_pk_add_f16 v4, v27, v4
	v_pk_fma_f16 v27, v20, s8, v22 op_sel:[0,0,1] op_sel_hi:[1,0,0] neg_lo:[1,0,0] neg_hi:[1,0,0]
	v_pk_add_f16 v2, v19, v2
	v_pk_add_f16 v0, v1, v0
	v_pk_fma_f16 v1, v17, s22, v21 op_sel:[0,0,1] op_sel_hi:[1,0,0]
	v_add_f16_e32 v41, v34, v41
	v_alignbit_b32 v34, s0, v27, 16
	v_pk_add_f16 v2, v25, v2
	v_pk_add_f16 v0, v1, v0
	v_pk_fma_f16 v1, v20, s8, v22 op_sel:[0,0,1] op_sel_hi:[1,0,0]
	v_pk_add_f16 v4, v34, v4
	v_pk_add_f16 v2, v27, v2
	v_pk_add_f16 v0, v1, v0
	v_alignbit_b32 v1, v2, v0, 16
	v_pack_b32_f16 v0, v4, v0
	v_mul_f16_e32 v24, 0x3b47, v20
	ds_write2_b32 v37, v0, v1 offset0:5 offset1:6
	v_lshlrev_b32_e32 v0, 16, v3
	v_pk_mul_f16 v15, v20, s26
	v_pk_add_f16 v1, v10, v24 neg_lo:[0,1] neg_hi:[0,1]
	v_pk_add_f16 v0, v26, v0
	v_bfi_b32 v0, s21, v1, v0
	v_pack_b32_f16 v1, v6, v5
	v_bfi_b32 v2, s21, v9, v15
	v_pk_add_f16 v1, v1, v2
	v_pk_add_f16 v0, v0, v1
	v_add_f16_e32 v41, v40, v41
	v_add_f16_e32 v38, v42, v38
	v_alignbit_b32 v1, v23, v0, 16
	v_pack_b32_f16 v0, v35, v0
	s_mov_b32 s8, 0x5040100
	ds_write2_b32 v37, v0, v1 offset0:7 offset1:8
	v_pack_b32_f16 v0, v38, v41
	v_perm_b32 v1, v28, v18, s8
	ds_write2_b32 v37, v0, v1 offset0:9 offset1:10
.LBB0_7:
	s_or_b64 exec, exec, s[4:5]
	s_load_dwordx4 s[8:11], s[2:3], 0x0
	s_movk_i32 s2, 0x75
	v_mul_lo_u16_sdwa v0, v30, s2 dst_sel:DWORD dst_unused:UNUSED_PAD src0_sel:BYTE_0 src1_sel:DWORD
	v_sub_u16_sdwa v1, v30, v0 dst_sel:DWORD dst_unused:UNUSED_PAD src0_sel:DWORD src1_sel:BYTE_1
	v_lshrrev_b16_e32 v1, 1, v1
	v_and_b32_e32 v1, 0x7f, v1
	v_add_u16_sdwa v0, v1, v0 dst_sel:DWORD dst_unused:UNUSED_PAD src0_sel:DWORD src1_sel:BYTE_1
	v_lshrrev_b16_e32 v21, 3, v0
	v_mul_lo_u16_e32 v0, 11, v21
	v_sub_u16_e32 v0, v30, v0
	v_and_b32_e32 v22, 0xff, v0
	v_mad_u64_u32 v[9:10], s[2:3], v22, 36, s[14:15]
	s_waitcnt lgkmcnt(0)
	s_barrier
	global_load_dwordx4 v[0:3], v[9:10], off
	global_load_dwordx4 v[4:7], v[9:10], off offset:16
	global_load_dword v35, v[9:10], off offset:32
	v_add_lshl_u32 v34, v31, v30, 2
	ds_read2_b32 v[9:10], v34 offset1:33
	ds_read2_b32 v[11:12], v34 offset0:66 offset1:99
	ds_read2_b32 v[13:14], v34 offset0:132 offset1:165
	;; [unrolled: 1-line block ×3, first 2 shown]
	v_add_u32_e32 v17, 0x400, v34
	ds_read2_b32 v[19:20], v17 offset0:8 offset1:41
	s_waitcnt lgkmcnt(3)
	v_lshrrev_b32_e32 v24, 16, v11
	s_waitcnt lgkmcnt(2)
	v_lshrrev_b32_e32 v26, 16, v13
	;; [unrolled: 2-line block ×3, first 2 shown]
	v_lshrrev_b32_e32 v23, 16, v10
	s_waitcnt lgkmcnt(0)
	v_lshrrev_b32_e32 v38, 16, v19
	v_lshrrev_b32_e32 v25, 16, v12
	v_lshrrev_b32_e32 v27, 16, v14
	s_movk_i32 s3, 0x3b9c
	s_mov_b32 s16, 0xbb9c
	s_movk_i32 s4, 0x38b4
	s_mov_b32 s2, 0xb8b4
	v_lshrrev_b32_e32 v17, 16, v9
	s_movk_i32 s5, 0x34f2
	v_lshrrev_b32_e32 v37, 16, v16
	v_lshrrev_b32_e32 v39, 16, v20
	s_movk_i32 s17, 0x3a79
	s_waitcnt vmcnt(0)
	s_barrier
	v_mul_f16_sdwa v46, v26, v3 dst_sel:DWORD dst_unused:UNUSED_PAD src0_sel:DWORD src1_sel:WORD_1
	v_mul_f16_sdwa v50, v36, v5 dst_sel:DWORD dst_unused:UNUSED_PAD src0_sel:DWORD src1_sel:WORD_1
	;; [unrolled: 1-line block ×9, first 2 shown]
	v_fma_f16 v13, v13, v3, -v46
	v_fma_f16 v15, v15, v5, -v50
	v_mul_f16_sdwa v40, v23, v0 dst_sel:DWORD dst_unused:UNUSED_PAD src0_sel:DWORD src1_sel:WORD_1
	v_fma_f16 v23, v23, v0, v41
	v_fma_f16 v11, v11, v1, -v42
	v_fma_f16 v24, v24, v1, v43
	v_fma_f16 v19, v19, v7, -v54
	v_fma_f16 v38, v38, v7, v55
	v_add_f16_e32 v41, v13, v15
	v_mul_f16_sdwa v44, v25, v2 dst_sel:DWORD dst_unused:UNUSED_PAD src0_sel:DWORD src1_sel:WORD_1
	v_mul_f16_sdwa v45, v12, v2 dst_sel:DWORD dst_unused:UNUSED_PAD src0_sel:DWORD src1_sel:WORD_1
	;; [unrolled: 1-line block ×3, first 2 shown]
	v_fma_f16 v26, v26, v3, v47
	v_fma_f16 v36, v36, v5, v51
	v_sub_f16_e32 v42, v24, v38
	v_add_f16_e32 v46, v11, v19
	v_fma_f16 v41, v41, -0.5, v9
	v_mul_f16_sdwa v49, v14, v4 dst_sel:DWORD dst_unused:UNUSED_PAD src0_sel:DWORD src1_sel:WORD_1
	v_fma_f16 v10, v10, v0, -v40
	v_fma_f16 v12, v12, v2, -v44
	v_fma_f16 v25, v25, v2, v45
	v_fma_f16 v14, v14, v4, -v48
	v_add_f16_e32 v40, v9, v11
	v_sub_f16_e32 v43, v26, v36
	v_sub_f16_e32 v44, v11, v13
	;; [unrolled: 1-line block ×5, first 2 shown]
	v_fma_f16 v9, v46, -0.5, v9
	v_fma_f16 v46, v42, s3, v41
	v_fma_f16 v41, v42, s16, v41
	v_add_f16_e32 v40, v40, v13
	v_add_f16_e32 v44, v44, v45
	;; [unrolled: 1-line block ×3, first 2 shown]
	v_fma_f16 v47, v43, s16, v9
	v_fma_f16 v46, v43, s4, v46
	;; [unrolled: 1-line block ×4, first 2 shown]
	v_add_f16_e32 v43, v26, v36
	v_add_f16_e32 v40, v40, v15
	v_fma_f16 v43, v43, -0.5, v17
	v_sub_f16_e32 v11, v11, v19
	v_add_f16_e32 v40, v40, v19
	v_fma_f16 v47, v42, s4, v47
	v_fma_f16 v9, v42, s2, v9
	;; [unrolled: 1-line block ×3, first 2 shown]
	v_sub_f16_e32 v13, v13, v15
	v_fma_f16 v46, v44, s5, v46
	v_fma_f16 v41, v44, s5, v41
	v_fma_f16 v44, v45, s5, v47
	v_fma_f16 v9, v45, s5, v9
	v_fma_f16 v15, v13, s2, v19
	v_sub_f16_e32 v19, v24, v26
	v_sub_f16_e32 v45, v38, v36
	v_fma_f16 v43, v11, s3, v43
	v_add_f16_e32 v19, v19, v45
	v_fma_f16 v43, v13, s4, v43
	v_fma_f16 v15, v19, s5, v15
	;; [unrolled: 1-line block ×3, first 2 shown]
	v_add_f16_e32 v43, v24, v38
	v_mul_f16_sdwa v52, v37, v6 dst_sel:DWORD dst_unused:UNUSED_PAD src0_sel:DWORD src1_sel:WORD_1
	v_add_f16_e32 v42, v17, v24
	v_fma_f16 v17, v43, -0.5, v17
	v_mul_f16_sdwa v53, v16, v6 dst_sel:DWORD dst_unused:UNUSED_PAD src0_sel:DWORD src1_sel:WORD_1
	v_mul_f16_sdwa v57, v20, v35 dst_sel:DWORD dst_unused:UNUSED_PAD src0_sel:DWORD src1_sel:WORD_1
	v_fma_f16 v16, v16, v6, -v52
	v_add_f16_e32 v42, v42, v26
	v_fma_f16 v43, v13, s3, v17
	v_sub_f16_e32 v24, v26, v24
	v_sub_f16_e32 v26, v36, v38
	v_fma_f16 v13, v13, s16, v17
	v_mul_f16_sdwa v56, v39, v35 dst_sel:DWORD dst_unused:UNUSED_PAD src0_sel:DWORD src1_sel:WORD_1
	v_fma_f16 v39, v39, v35, v57
	v_fma_f16 v43, v11, s2, v43
	v_add_f16_e32 v24, v24, v26
	v_fma_f16 v11, v11, s4, v13
	v_add_f16_e32 v17, v14, v16
	v_fma_f16 v27, v27, v4, v49
	v_fma_f16 v37, v37, v6, v53
	v_fma_f16 v20, v20, v35, -v56
	v_add_f16_e32 v42, v42, v36
	v_fma_f16 v26, v24, s5, v43
	v_fma_f16 v11, v24, s5, v11
	v_fma_f16 v17, v17, -0.5, v10
	v_sub_f16_e32 v24, v25, v39
	v_add_f16_e32 v42, v42, v38
	v_fma_f16 v36, v24, s3, v17
	v_sub_f16_e32 v38, v27, v37
	v_sub_f16_e32 v43, v12, v14
	;; [unrolled: 1-line block ×3, first 2 shown]
	v_fma_f16 v17, v24, s16, v17
	v_fma_f16 v36, v38, s4, v36
	v_add_f16_e32 v43, v43, v45
	v_fma_f16 v17, v38, s2, v17
	v_fma_f16 v36, v43, s5, v36
	;; [unrolled: 1-line block ×3, first 2 shown]
	v_add_f16_e32 v43, v12, v20
	v_add_f16_e32 v13, v10, v12
	v_fma_f16 v10, v43, -0.5, v10
	v_add_f16_e32 v13, v13, v14
	v_fma_f16 v43, v38, s16, v10
	v_fma_f16 v10, v38, s3, v10
	v_add_f16_e32 v38, v27, v37
	v_add_f16_e32 v13, v13, v16
	v_sub_f16_e32 v45, v14, v12
	v_sub_f16_e32 v47, v16, v20
	v_fma_f16 v38, v38, -0.5, v23
	v_sub_f16_e32 v12, v12, v20
	v_add_f16_e32 v13, v13, v20
	v_fma_f16 v43, v24, s4, v43
	v_add_f16_e32 v45, v45, v47
	v_fma_f16 v10, v24, s2, v10
	v_fma_f16 v20, v12, s16, v38
	v_sub_f16_e32 v14, v14, v16
	v_fma_f16 v43, v45, s5, v43
	v_fma_f16 v10, v45, s5, v10
	;; [unrolled: 1-line block ×3, first 2 shown]
	v_sub_f16_e32 v20, v25, v27
	v_sub_f16_e32 v45, v39, v37
	v_fma_f16 v38, v12, s3, v38
	v_add_f16_e32 v20, v20, v45
	v_fma_f16 v38, v14, s4, v38
	v_fma_f16 v16, v20, s5, v16
	;; [unrolled: 1-line block ×3, first 2 shown]
	v_add_f16_e32 v38, v25, v39
	v_add_f16_e32 v24, v23, v25
	v_fma_f16 v23, v38, -0.5, v23
	v_add_f16_e32 v24, v24, v27
	v_fma_f16 v38, v14, s3, v23
	v_sub_f16_e32 v25, v27, v25
	v_sub_f16_e32 v27, v37, v39
	v_fma_f16 v14, v14, s16, v23
	v_add_f16_e32 v24, v24, v37
	v_fma_f16 v38, v12, s2, v38
	v_add_f16_e32 v25, v25, v27
	;; [unrolled: 2-line block ×3, first 2 shown]
	v_fma_f16 v12, v25, s5, v12
	v_mul_f16_e32 v39, 0x34f2, v10
	v_mul_f16_e32 v23, 0x38b4, v16
	v_fma_f16 v39, v12, s3, -v39
	v_mul_f16_e32 v12, 0x34f2, v12
	v_fma_f16 v27, v25, s5, v38
	v_fma_f16 v23, v36, s17, v23
	v_mul_f16_e32 v36, 0xb8b4, v36
	v_fma_f16 v10, v10, s16, -v12
	v_mul_f16_e32 v37, 0x3b9c, v27
	v_mul_f16_e32 v47, 0x3a79, v17
	v_fma_f16 v16, v16, s17, v36
	v_mul_f16_e32 v36, 0xbb9c, v43
	v_add_f16_e32 v12, v11, v10
	v_sub_f16_e32 v10, v11, v10
	v_mul_u32_u24_e32 v11, 0x6e, v21
	v_add_f16_e32 v14, v40, v13
	v_add_f16_e32 v25, v46, v23
	v_fma_f16 v37, v43, s5, v37
	v_fma_f16 v47, v20, s4, -v47
	v_add_f16_e32 v49, v42, v24
	v_add_f16_e32 v50, v15, v16
	v_fma_f16 v27, v27, s5, v36
	v_mul_f16_e32 v20, 0x3a79, v20
	v_add_u32_e32 v11, v11, v22
	v_add_f16_e32 v38, v44, v37
	v_add_f16_e32 v45, v9, v39
	;; [unrolled: 1-line block ×3, first 2 shown]
	v_fma_f16 v20, v17, s2, -v20
	v_sub_f16_e32 v13, v40, v13
	v_sub_f16_e32 v40, v44, v37
	v_add_lshl_u32 v37, v31, v11, 2
	v_pack_b32_f16 v11, v14, v49
	v_pack_b32_f16 v14, v25, v50
	v_add_f16_e32 v48, v41, v47
	v_add_f16_e32 v51, v19, v20
	v_sub_f16_e32 v24, v42, v24
	ds_write2_b32 v37, v11, v14 offset1:11
	v_pack_b32_f16 v11, v38, v43
	v_pack_b32_f16 v12, v45, v12
	v_sub_f16_e32 v23, v46, v23
	v_sub_f16_e32 v9, v9, v39
	;; [unrolled: 1-line block ×6, first 2 shown]
	ds_write2_b32 v37, v11, v12 offset0:22 offset1:33
	v_pack_b32_f16 v11, v48, v51
	v_pack_b32_f16 v12, v13, v24
	ds_write2_b32 v37, v11, v12 offset0:44 offset1:55
	v_pack_b32_f16 v11, v23, v15
	v_pack_b32_f16 v12, v40, v16
	;; [unrolled: 1-line block ×4, first 2 shown]
	ds_write2_b32 v37, v11, v12 offset0:66 offset1:77
	ds_write2_b32 v37, v9, v10 offset0:88 offset1:99
	s_waitcnt lgkmcnt(0)
	s_barrier
	ds_read2_b32 v[22:23], v34 offset1:33
	ds_read2_b32 v[26:27], v34 offset0:66 offset1:110
	ds_read2_b32 v[19:20], v34 offset0:220 offset1:253
	;; [unrolled: 1-line block ×3, first 2 shown]
	ds_read_b32 v21, v34 offset:1144
	v_cmp_gt_u16_e64 s[2:3], 11, v30
                                        ; implicit-def: $vgpr38
                                        ; implicit-def: $vgpr39
	s_and_saveexec_b64 s[4:5], s[2:3]
	s_cbranch_execz .LBB0_9
; %bb.8:
	ds_read2_b32 v[17:18], v34 offset0:99 offset1:209
	ds_read_b32 v38, v34 offset:1276
	s_waitcnt lgkmcnt(1)
	v_lshrrev_b32_e32 v36, 16, v17
	v_lshrrev_b32_e32 v28, 16, v18
	s_waitcnt lgkmcnt(0)
	v_lshrrev_b32_e32 v39, 16, v38
.LBB0_9:
	s_or_b64 exec, exec, s[4:5]
	v_lshlrev_b32_e32 v9, 3, v30
	v_add_u32_e32 v10, 0x108, v9
	global_load_dwordx2 v[11:12], v9, s[14:15] offset:396
	global_load_dwordx2 v[13:14], v10, s[14:15] offset:396
	v_add_u32_e32 v9, 0x210, v9
	global_load_dwordx2 v[15:16], v9, s[14:15] offset:396
	v_add_co_u32_e32 v9, vcc, 0x63, v30
	v_add_co_u32_e64 v10, s[4:5], -11, v30
	v_addc_co_u32_e64 v40, s[4:5], 0, -1, s[4:5]
	v_addc_co_u32_e64 v42, s[4:5], 0, 0, vcc
	v_cndmask_b32_e64 v9, v10, v9, s[2:3]
	v_cndmask_b32_e64 v10, v40, v42, s[2:3]
	v_lshlrev_b64 v[9:10], 3, v[9:10]
	v_mov_b32_e32 v41, s15
	v_add_co_u32_e32 v9, vcc, s14, v9
	v_addc_co_u32_e32 v10, vcc, v41, v10, vcc
	global_load_dwordx2 v[9:10], v[9:10], off offset:396
	s_waitcnt lgkmcnt(3)
	v_lshrrev_b32_e32 v41, 16, v27
	s_waitcnt lgkmcnt(2)
	v_lshrrev_b32_e32 v42, 16, v19
	;; [unrolled: 2-line block ×3, first 2 shown]
	v_lshrrev_b32_e32 v46, 16, v25
	s_waitcnt lgkmcnt(0)
	v_lshrrev_b32_e32 v47, 16, v21
	v_lshrrev_b32_e32 v40, 16, v22
	;; [unrolled: 1-line block ×3, first 2 shown]
	s_movk_i32 s4, 0x3aee
	s_mov_b32 s5, 0xbaee
	v_lshrrev_b32_e32 v44, 16, v23
	v_lshrrev_b32_e32 v49, 16, v26
	s_waitcnt vmcnt(3)
	v_mul_f16_sdwa v48, v41, v11 dst_sel:DWORD dst_unused:UNUSED_PAD src0_sel:DWORD src1_sel:WORD_1
	v_mul_f16_sdwa v50, v27, v11 dst_sel:DWORD dst_unused:UNUSED_PAD src0_sel:DWORD src1_sel:WORD_1
	;; [unrolled: 1-line block ×4, first 2 shown]
	v_fma_f16 v27, v27, v11, -v48
	v_fma_f16 v41, v41, v11, v50
	v_fma_f16 v19, v19, v12, -v51
	v_fma_f16 v42, v42, v12, v52
	s_waitcnt vmcnt(2)
	v_mul_f16_sdwa v48, v43, v13 dst_sel:DWORD dst_unused:UNUSED_PAD src0_sel:DWORD src1_sel:WORD_1
	v_mul_f16_sdwa v50, v24, v13 dst_sel:DWORD dst_unused:UNUSED_PAD src0_sel:DWORD src1_sel:WORD_1
	s_waitcnt vmcnt(1)
	v_mul_f16_sdwa v53, v46, v15 dst_sel:DWORD dst_unused:UNUSED_PAD src0_sel:DWORD src1_sel:WORD_1
	v_mul_f16_sdwa v55, v47, v16 dst_sel:DWORD dst_unused:UNUSED_PAD src0_sel:DWORD src1_sel:WORD_1
	;; [unrolled: 1-line block ×5, first 2 shown]
	v_fma_f16 v48, v24, v13, -v48
	v_fma_f16 v50, v43, v13, v50
	v_fma_f16 v53, v25, v15, -v53
	v_fma_f16 v55, v21, v16, -v55
	v_add_f16_e32 v21, v27, v19
	v_add_f16_e32 v25, v40, v41
	;; [unrolled: 1-line block ×3, first 2 shown]
	v_mul_f16_sdwa v52, v20, v14 dst_sel:DWORD dst_unused:UNUSED_PAD src0_sel:DWORD src1_sel:WORD_1
	v_fma_f16 v51, v20, v14, -v51
	v_add_f16_e32 v20, v22, v27
	v_sub_f16_e32 v24, v41, v42
	v_sub_f16_e32 v27, v27, v19
	v_fma_f16 v21, v21, -0.5, v22
	v_add_f16_e32 v41, v25, v42
	v_fma_f16 v22, v43, -0.5, v40
	v_add_f16_e32 v25, v23, v48
	v_fma_f16 v52, v45, v14, v52
	v_add_f16_e32 v40, v48, v51
	v_fma_f16 v42, v27, s5, v22
	v_fma_f16 v43, v27, s4, v22
	v_add_f16_e32 v22, v25, v51
	s_waitcnt vmcnt(0)
	v_mul_f16_sdwa v25, v28, v9 dst_sel:DWORD dst_unused:UNUSED_PAD src0_sel:DWORD src1_sel:WORD_1
	v_add_f16_e32 v19, v20, v19
	v_sub_f16_e32 v45, v50, v52
	v_fma_f16 v20, v24, s4, v21
	v_fma_f16 v21, v24, s5, v21
	v_fma_f16 v24, v40, -0.5, v23
	v_mul_f16_sdwa v27, v18, v9 dst_sel:DWORD dst_unused:UNUSED_PAD src0_sel:DWORD src1_sel:WORD_1
	v_fma_f16 v18, v18, v9, -v25
	v_add_f16_e32 v25, v44, v50
	v_fma_f16 v23, v45, s4, v24
	v_fma_f16 v24, v45, s5, v24
	v_add_f16_e32 v45, v25, v52
	v_add_f16_e32 v25, v50, v52
	v_fma_f16 v54, v46, v15, v54
	v_mul_f16_sdwa v46, v38, v10 dst_sel:DWORD dst_unused:UNUSED_PAD src0_sel:DWORD src1_sel:WORD_1
	v_fma_f16 v57, v28, v9, v27
	v_fma_f16 v25, v25, -0.5, v44
	v_sub_f16_e32 v27, v48, v51
	v_fma_f16 v56, v47, v16, v56
	v_mul_f16_sdwa v40, v39, v10 dst_sel:DWORD dst_unused:UNUSED_PAD src0_sel:DWORD src1_sel:WORD_1
	v_fma_f16 v39, v39, v10, v46
	v_fma_f16 v46, v27, s5, v25
	;; [unrolled: 1-line block ×3, first 2 shown]
	v_add_f16_e32 v27, v53, v55
	v_fma_f16 v27, v27, -0.5, v26
	v_sub_f16_e32 v28, v54, v56
	v_add_f16_e32 v25, v26, v53
	v_fma_f16 v26, v28, s4, v27
	v_fma_f16 v27, v28, s5, v27
	v_add_f16_e32 v28, v49, v54
	v_add_f16_e32 v48, v28, v56
	;; [unrolled: 1-line block ×3, first 2 shown]
	v_fma_f16 v40, v38, v10, -v40
	v_fma_f16 v28, v28, -0.5, v49
	v_sub_f16_e32 v38, v53, v55
	v_fma_f16 v49, v38, s5, v28
	v_fma_f16 v50, v38, s4, v28
	v_add_f16_e32 v38, v18, v40
	v_add_f16_e32 v28, v17, v18
	v_fma_f16 v17, v38, -0.5, v17
	v_sub_f16_e32 v38, v57, v39
	v_fma_f16 v51, v38, s4, v17
	v_fma_f16 v38, v38, s5, v17
	v_add_f16_e32 v17, v36, v57
	v_add_f16_e32 v17, v17, v39
	;; [unrolled: 1-line block ×3, first 2 shown]
	v_fma_f16 v36, v39, -0.5, v36
	v_sub_f16_e32 v18, v18, v40
	v_add_f16_e32 v28, v28, v40
	v_fma_f16 v52, v18, s5, v36
	v_fma_f16 v39, v18, s4, v36
	v_lshl_add_u32 v36, v30, 2, v32
	v_pack_b32_f16 v40, v20, v42
	v_pack_b32_f16 v44, v21, v43
	;; [unrolled: 1-line block ×3, first 2 shown]
	ds_write2_b32 v36, v40, v44 offset0:110 offset1:220
	v_pack_b32_f16 v40, v22, v45
	ds_write2_b32 v36, v18, v40 offset1:33
	v_add_u32_e32 v40, v29, v32
	v_pack_b32_f16 v18, v23, v46
	v_add_f16_e32 v25, v25, v55
	ds_write_b32 v40, v18 offset:572
	v_pack_b32_f16 v18, v24, v47
	ds_write_b32 v40, v18 offset:1012
	v_pack_b32_f16 v18, v25, v48
	;; [unrolled: 2-line block ×4, first 2 shown]
	ds_write_b32 v40, v18 offset:1144
	s_and_saveexec_b64 s[4:5], s[2:3]
	s_cbranch_execz .LBB0_11
; %bb.10:
	s_mov_b32 s14, 0x5040100
	v_perm_b32 v18, v17, v28, s14
	v_perm_b32 v44, v52, v51, s14
	ds_write2_b32 v36, v18, v44 offset0:99 offset1:209
	v_perm_b32 v18, v39, v38, s14
	ds_write_b32 v36, v18 offset:1276
.LBB0_11:
	s_or_b64 exec, exec, s[4:5]
	s_waitcnt lgkmcnt(0)
	s_barrier
	s_and_saveexec_b64 s[4:5], s[0:1]
	s_cbranch_execz .LBB0_13
; %bb.12:
	global_load_dword v44, v29, s[6:7] offset:1320
	ds_read2_b32 v[53:54], v36 offset1:30
	s_add_u32 s14, s6, 0x528
	s_addc_u32 s15, s7, 0
	s_waitcnt lgkmcnt(0)
	v_lshrrev_b32_e32 v18, 16, v53
	s_waitcnt vmcnt(0)
	v_mul_f16_sdwa v55, v18, v44 dst_sel:DWORD dst_unused:UNUSED_PAD src0_sel:DWORD src1_sel:WORD_1
	v_fma_f16 v55, v53, v44, -v55
	v_mul_f16_sdwa v53, v53, v44 dst_sel:DWORD dst_unused:UNUSED_PAD src0_sel:DWORD src1_sel:WORD_1
	v_fma_f16 v18, v18, v44, v53
	global_load_dword v53, v29, s[14:15] offset:120
	v_lshrrev_b32_e32 v44, 16, v54
	v_pack_b32_f16 v18, v55, v18
	s_waitcnt vmcnt(0)
	v_mul_f16_sdwa v55, v44, v53 dst_sel:DWORD dst_unused:UNUSED_PAD src0_sel:DWORD src1_sel:WORD_1
	v_fma_f16 v55, v54, v53, -v55
	v_mul_f16_sdwa v54, v54, v53 dst_sel:DWORD dst_unused:UNUSED_PAD src0_sel:DWORD src1_sel:WORD_1
	v_fma_f16 v44, v44, v53, v54
	v_pack_b32_f16 v44, v55, v44
	ds_write2_b32 v36, v18, v44 offset1:30
	global_load_dword v44, v29, s[14:15] offset:240
	ds_read2_b32 v[53:54], v36 offset0:60 offset1:90
	s_waitcnt lgkmcnt(0)
	v_lshrrev_b32_e32 v18, 16, v53
	s_waitcnt vmcnt(0)
	v_mul_f16_sdwa v55, v18, v44 dst_sel:DWORD dst_unused:UNUSED_PAD src0_sel:DWORD src1_sel:WORD_1
	v_fma_f16 v55, v53, v44, -v55
	v_mul_f16_sdwa v53, v53, v44 dst_sel:DWORD dst_unused:UNUSED_PAD src0_sel:DWORD src1_sel:WORD_1
	v_fma_f16 v18, v18, v44, v53
	global_load_dword v53, v29, s[14:15] offset:360
	v_lshrrev_b32_e32 v44, 16, v54
	v_pack_b32_f16 v18, v55, v18
	s_waitcnt vmcnt(0)
	v_mul_f16_sdwa v55, v44, v53 dst_sel:DWORD dst_unused:UNUSED_PAD src0_sel:DWORD src1_sel:WORD_1
	v_fma_f16 v55, v54, v53, -v55
	v_mul_f16_sdwa v54, v54, v53 dst_sel:DWORD dst_unused:UNUSED_PAD src0_sel:DWORD src1_sel:WORD_1
	v_fma_f16 v44, v44, v53, v54
	v_pack_b32_f16 v44, v55, v44
	ds_write2_b32 v36, v18, v44 offset0:60 offset1:90
	global_load_dword v44, v29, s[14:15] offset:480
	ds_read2_b32 v[53:54], v36 offset0:120 offset1:150
	s_waitcnt lgkmcnt(0)
	v_lshrrev_b32_e32 v18, 16, v53
	s_waitcnt vmcnt(0)
	v_mul_f16_sdwa v55, v18, v44 dst_sel:DWORD dst_unused:UNUSED_PAD src0_sel:DWORD src1_sel:WORD_1
	v_fma_f16 v55, v53, v44, -v55
	v_mul_f16_sdwa v53, v53, v44 dst_sel:DWORD dst_unused:UNUSED_PAD src0_sel:DWORD src1_sel:WORD_1
	v_fma_f16 v18, v18, v44, v53
	global_load_dword v53, v29, s[14:15] offset:600
	v_lshrrev_b32_e32 v44, 16, v54
	v_pack_b32_f16 v18, v55, v18
	s_waitcnt vmcnt(0)
	v_mul_f16_sdwa v55, v44, v53 dst_sel:DWORD dst_unused:UNUSED_PAD src0_sel:DWORD src1_sel:WORD_1
	v_fma_f16 v55, v54, v53, -v55
	v_mul_f16_sdwa v54, v54, v53 dst_sel:DWORD dst_unused:UNUSED_PAD src0_sel:DWORD src1_sel:WORD_1
	v_fma_f16 v44, v44, v53, v54
	v_pack_b32_f16 v44, v55, v44
	ds_write2_b32 v36, v18, v44 offset0:120 offset1:150
	global_load_dword v44, v29, s[14:15] offset:720
	ds_read2_b32 v[53:54], v36 offset0:180 offset1:210
	s_waitcnt lgkmcnt(0)
	v_lshrrev_b32_e32 v18, 16, v53
	s_waitcnt vmcnt(0)
	v_mul_f16_sdwa v55, v18, v44 dst_sel:DWORD dst_unused:UNUSED_PAD src0_sel:DWORD src1_sel:WORD_1
	v_fma_f16 v55, v53, v44, -v55
	v_mul_f16_sdwa v53, v53, v44 dst_sel:DWORD dst_unused:UNUSED_PAD src0_sel:DWORD src1_sel:WORD_1
	v_fma_f16 v18, v18, v44, v53
	global_load_dword v53, v29, s[14:15] offset:840
	v_lshrrev_b32_e32 v44, 16, v54
	v_pack_b32_f16 v18, v55, v18
	s_waitcnt vmcnt(0)
	v_mul_f16_sdwa v55, v44, v53 dst_sel:DWORD dst_unused:UNUSED_PAD src0_sel:DWORD src1_sel:WORD_1
	v_fma_f16 v55, v54, v53, -v55
	v_mul_f16_sdwa v54, v54, v53 dst_sel:DWORD dst_unused:UNUSED_PAD src0_sel:DWORD src1_sel:WORD_1
	v_fma_f16 v44, v44, v53, v54
	v_pack_b32_f16 v44, v55, v44
	global_load_dword v55, v29, s[14:15] offset:960
	ds_write2_b32 v36, v18, v44 offset0:180 offset1:210
	v_add_u32_e32 v18, 0x200, v36
	ds_read2_b32 v[53:54], v18 offset0:112 offset1:142
	s_waitcnt lgkmcnt(0)
	v_lshrrev_b32_e32 v44, 16, v53
	s_waitcnt vmcnt(0)
	v_mul_f16_sdwa v56, v44, v55 dst_sel:DWORD dst_unused:UNUSED_PAD src0_sel:DWORD src1_sel:WORD_1
	v_fma_f16 v56, v53, v55, -v56
	v_mul_f16_sdwa v53, v53, v55 dst_sel:DWORD dst_unused:UNUSED_PAD src0_sel:DWORD src1_sel:WORD_1
	v_fma_f16 v44, v44, v55, v53
	global_load_dword v55, v29, s[14:15] offset:1080
	v_lshrrev_b32_e32 v53, 16, v54
	v_pack_b32_f16 v44, v56, v44
	s_waitcnt vmcnt(0)
	v_mul_f16_sdwa v56, v53, v55 dst_sel:DWORD dst_unused:UNUSED_PAD src0_sel:DWORD src1_sel:WORD_1
	v_fma_f16 v56, v54, v55, -v56
	v_mul_f16_sdwa v54, v54, v55 dst_sel:DWORD dst_unused:UNUSED_PAD src0_sel:DWORD src1_sel:WORD_1
	v_fma_f16 v53, v53, v55, v54
	v_pack_b32_f16 v53, v56, v53
	ds_write2_b32 v18, v44, v53 offset0:112 offset1:142
	global_load_dword v53, v29, s[14:15] offset:1200
	ds_read_b32 v18, v36 offset:1200
	s_waitcnt lgkmcnt(0)
	v_lshrrev_b32_e32 v44, 16, v18
	s_waitcnt vmcnt(0)
	v_mul_f16_sdwa v54, v44, v53 dst_sel:DWORD dst_unused:UNUSED_PAD src0_sel:DWORD src1_sel:WORD_1
	v_fma_f16 v54, v18, v53, -v54
	v_mul_f16_sdwa v18, v18, v53 dst_sel:DWORD dst_unused:UNUSED_PAD src0_sel:DWORD src1_sel:WORD_1
	v_fma_f16 v18, v44, v53, v18
	v_pack_b32_f16 v18, v54, v18
	ds_write_b32 v36, v18 offset:1200
.LBB0_13:
	s_or_b64 exec, exec, s[4:5]
	s_waitcnt lgkmcnt(0)
	s_barrier
	s_and_saveexec_b64 s[4:5], s[0:1]
	s_cbranch_execz .LBB0_15
; %bb.14:
	v_add_u32_e32 v17, 0x200, v36
	ds_read2_b32 v[19:20], v36 offset1:30
	ds_read2_b32 v[21:22], v36 offset0:60 offset1:90
	ds_read2_b32 v[23:24], v36 offset0:120 offset1:150
	;; [unrolled: 1-line block ×4, first 2 shown]
	ds_read_b32 v51, v36 offset:1200
	s_waitcnt lgkmcnt(5)
	v_lshrrev_b32_e32 v41, 16, v19
	v_lshrrev_b32_e32 v42, 16, v20
	s_waitcnt lgkmcnt(4)
	v_lshrrev_b32_e32 v43, 16, v21
	v_lshrrev_b32_e32 v45, 16, v22
	;; [unrolled: 3-line block ×5, first 2 shown]
	s_waitcnt lgkmcnt(0)
	v_lshrrev_b32_e32 v52, 16, v51
.LBB0_15:
	s_or_b64 exec, exec, s[4:5]
	v_sub_f16_e32 v68, v42, v52
	v_add_f16_e32 v53, v51, v20
	v_add_f16_e32 v72, v52, v42
	s_movk_i32 s14, 0x3abb
	v_mul_f16_e32 v63, 0xb853, v68
	v_sub_f16_e32 v70, v43, v17
	v_sub_f16_e32 v55, v20, v51
	s_mov_b32 s18, 0xb853
	v_mul_f16_e32 v65, 0x3abb, v72
	v_fma_f16 v18, v53, s14, -v63
	v_add_f16_e32 v54, v28, v21
	v_add_f16_e32 v76, v17, v43
	s_movk_i32 s15, 0x36a6
	v_mul_f16_e32 v64, 0xbb47, v70
	v_add_f16_e32 v18, v19, v18
	v_fma_f16 v44, v55, s18, v65
	v_sub_f16_e32 v57, v21, v28
	s_mov_b32 s17, 0xbb47
	v_mul_f16_e32 v67, 0x36a6, v76
	v_fma_f16 v56, v54, s15, -v64
	v_add_f16_e32 v44, v41, v44
	v_add_f16_e32 v18, v56, v18
	v_fma_f16 v56, v57, s17, v67
	v_sub_f16_e32 v73, v45, v50
	v_add_f16_e32 v44, v56, v44
	v_add_f16_e32 v56, v27, v22
	v_add_f16_e32 v79, v50, v45
	s_mov_b32 s16, 0xb08e
	v_mul_f16_e32 v66, 0xbbeb, v73
	v_sub_f16_e32 v59, v22, v27
	s_mov_b32 s22, 0xbbeb
	v_mul_f16_e32 v71, 0xb08e, v79
	v_fma_f16 v58, v56, s16, -v66
	v_add_f16_e32 v18, v58, v18
	v_fma_f16 v58, v59, s22, v71
	v_sub_f16_e32 v77, v46, v49
	v_add_f16_e32 v44, v58, v44
	v_add_f16_e32 v58, v26, v23
	v_add_f16_e32 v81, v49, v46
	s_mov_b32 s19, 0xb93d
	v_mul_f16_e32 v69, 0xba0c, v77
	v_sub_f16_e32 v61, v23, v26
	s_mov_b32 s21, 0xba0c
	v_mul_f16_e32 v75, 0xb93d, v81
	v_fma_f16 v60, v58, s19, -v69
	;; [unrolled: 12-line block ×3, first 2 shown]
	v_add_f16_e32 v18, v83, v18
	v_fma_f16 v83, v62, s24, v78
	v_add_f16_e32 v44, v83, v44
	s_barrier
	s_and_saveexec_b64 s[4:5], s[0:1]
	s_cbranch_execz .LBB0_17
; %bb.16:
	v_mul_f16_e32 v93, 0xbbad, v72
	s_movk_i32 s23, 0x3482
	v_fma_f16 v94, v55, s23, v93
	v_mul_f16_e32 v95, 0x3abb, v76
	v_add_f16_e32 v94, v41, v94
	v_fma_f16 v96, v57, s18, v95
	v_add_f16_e32 v94, v96, v94
	v_mul_f16_e32 v96, 0xb93d, v79
	s_movk_i32 s27, 0x3a0c
	v_fma_f16 v97, v59, s27, v96
	v_add_f16_e32 v94, v97, v94
	v_mul_f16_e32 v97, 0x36a6, v81
	v_fma_f16 v98, v61, s17, v97
	v_add_f16_e32 v94, v98, v94
	v_mul_f16_e32 v98, 0xb08e, v82
	s_movk_i32 s25, 0x3beb
	v_fma_f16 v99, v62, s25, v98
	v_add_f16_e32 v94, v99, v94
	v_mul_f16_e32 v99, 0xb482, v68
	v_fma_f16 v100, v53, s20, v99
	v_mul_f16_e32 v101, 0x3853, v70
	v_add_f16_e32 v100, v19, v100
	v_fma_f16 v102, v54, s14, v101
	v_add_f16_e32 v100, v102, v100
	v_mul_f16_e32 v102, 0xba0c, v73
	v_fma_f16 v103, v56, s19, v102
	v_add_f16_e32 v100, v103, v100
	v_mul_f16_e32 v103, 0x3b47, v77
	v_fma_f16 v104, v58, s15, v103
	v_add_f16_e32 v20, v20, v19
	v_add_f16_e32 v100, v104, v100
	v_mul_f16_e32 v104, 0xbbeb, v80
	v_add_f16_e32 v20, v21, v20
	v_add_f16_e32 v21, v42, v41
	v_fma_f16 v105, v60, s16, v104
	v_add_f16_e32 v21, v43, v21
	v_add_f16_e32 v100, v105, v100
	v_mul_f16_e32 v105, 0xb93d, v72
	v_add_f16_e32 v21, v45, v21
	v_fma_f16 v106, v55, s27, v105
	v_mul_f16_e32 v107, 0xb08e, v76
	v_add_f16_e32 v21, v46, v21
	v_add_f16_e32 v106, v41, v106
	v_fma_f16 v108, v57, s22, v107
	v_add_f16_e32 v21, v47, v21
	s_movk_i32 s26, 0x3853
	v_add_f16_e32 v106, v108, v106
	v_mul_f16_e32 v108, 0x3abb, v79
	v_add_f16_e32 v21, v48, v21
	v_fma_f16 v109, v59, s26, v108
	v_add_f16_e32 v21, v49, v21
	v_add_f16_e32 v106, v109, v106
	v_mul_f16_e32 v109, 0xbbad, v81
	v_add_f16_e32 v21, v50, v21
	v_fma_f16 v110, v61, s23, v109
	v_add_f16_e32 v17, v17, v21
	v_fma_f16 v21, v55, s24, v93
	v_add_f16_e32 v106, v110, v106
	v_mul_f16_e32 v110, 0x36a6, v82
	v_add_f16_e32 v20, v22, v20
	v_add_f16_e32 v21, v41, v21
	v_fma_f16 v22, v57, s26, v95
	s_movk_i32 s28, 0x3b47
	v_fma_f16 v111, v62, s17, v110
	v_add_f16_e32 v21, v22, v21
	v_fma_f16 v22, v59, s21, v96
	v_add_f16_e32 v106, v111, v106
	v_mul_f16_e32 v111, 0xba0c, v68
	v_add_f16_e32 v21, v22, v21
	v_fma_f16 v22, v61, s28, v97
	v_fma_f16 v112, v53, s19, v111
	v_mul_f16_e32 v113, 0x3beb, v70
	v_add_f16_e32 v21, v22, v21
	v_fma_f16 v22, v62, s22, v98
	v_add_f16_e32 v112, v19, v112
	v_fma_f16 v114, v54, s16, v113
	v_add_f16_e32 v21, v22, v21
	v_fma_f16 v22, v53, s20, -v99
	v_add_f16_e32 v112, v114, v112
	v_mul_f16_e32 v114, 0xb853, v73
	v_add_f16_e32 v20, v23, v20
	v_add_f16_e32 v22, v19, v22
	v_fma_f16 v23, v54, s14, -v101
	v_fma_f16 v115, v56, s14, v114
	v_add_f16_e32 v22, v23, v22
	v_fma_f16 v23, v56, s19, -v102
	v_add_f16_e32 v112, v115, v112
	v_mul_f16_e32 v115, 0xb482, v77
	v_add_f16_e32 v22, v23, v22
	v_fma_f16 v23, v58, s15, -v103
	v_fma_f16 v116, v58, s20, v115
	v_add_f16_e32 v22, v23, v22
	v_fma_f16 v23, v60, s16, -v104
	v_add_f16_e32 v112, v116, v112
	v_mul_f16_e32 v116, 0x3b47, v80
	v_add_f16_e32 v22, v23, v22
	v_fma_f16 v23, v55, s21, v105
	v_fma_f16 v117, v60, s15, v116
	v_add_f16_e32 v20, v24, v20
	v_add_f16_e32 v23, v41, v23
	v_fma_f16 v24, v57, s25, v107
	v_add_f16_e32 v112, v117, v112
	v_mul_f16_e32 v117, 0xb08e, v72
	v_add_f16_e32 v23, v24, v23
	v_fma_f16 v24, v59, s18, v108
	v_fma_f16 v118, v55, s25, v117
	v_mul_f16_e32 v119, 0xbbad, v76
	v_add_f16_e32 v23, v24, v23
	v_fma_f16 v24, v61, s24, v109
	v_add_f16_e32 v118, v41, v118
	v_fma_f16 v120, v57, s24, v119
	;; [unrolled: 2-line block ×3, first 2 shown]
	v_add_f16_e32 v118, v120, v118
	v_mul_f16_e32 v120, 0x36a6, v79
	v_add_f16_e32 v23, v24, v23
	v_fma_f16 v24, v53, s19, -v111
	v_fma_f16 v121, v59, s17, v120
	v_add_f16_e32 v20, v25, v20
	v_add_f16_e32 v24, v19, v24
	v_fma_f16 v25, v54, s16, -v113
	v_add_f16_e32 v118, v121, v118
	v_mul_f16_e32 v121, 0x3abb, v81
	v_add_f16_e32 v24, v25, v24
	v_fma_f16 v25, v56, s14, -v114
	v_fma_f16 v122, v61, s26, v121
	v_add_f16_e32 v24, v25, v24
	v_fma_f16 v25, v58, s20, -v115
	v_add_f16_e32 v118, v122, v118
	v_mul_f16_e32 v122, 0xb93d, v82
	v_add_f16_e32 v24, v25, v24
	v_fma_f16 v25, v60, s15, -v116
	v_fma_f16 v123, v62, s27, v122
	v_add_f16_e32 v24, v25, v24
	v_fma_f16 v25, v55, s22, v117
	v_add_f16_e32 v118, v123, v118
	v_mul_f16_e32 v123, 0xbbeb, v68
	v_add_f16_e32 v20, v26, v20
	v_add_f16_e32 v25, v41, v25
	v_fma_f16 v26, v57, s23, v119
	v_fma_f16 v124, v53, s16, v123
	v_mul_f16_e32 v125, 0x3482, v70
	v_add_f16_e32 v25, v26, v25
	v_fma_f16 v26, v59, s28, v120
	v_add_f16_e32 v124, v19, v124
	v_fma_f16 v126, v54, s20, v125
	;; [unrolled: 2-line block ×3, first 2 shown]
	v_add_f16_e32 v124, v126, v124
	v_mul_f16_e32 v126, 0x3b47, v73
	v_add_f16_e32 v25, v26, v25
	v_fma_f16 v26, v62, s21, v122
	v_fma_f16 v127, v56, s15, v126
	v_add_f16_e32 v25, v26, v25
	v_fma_f16 v26, v53, s16, -v123
	v_add_f16_e32 v124, v127, v124
	v_mul_f16_e32 v127, 0xb853, v77
	v_add_f16_e32 v20, v27, v20
	v_add_f16_e32 v26, v19, v26
	v_fma_f16 v27, v54, s20, -v125
	v_fma_f16 v128, v58, s14, v127
	v_add_f16_e32 v26, v27, v26
	v_fma_f16 v27, v56, s15, -v126
	v_add_f16_e32 v124, v128, v124
	v_mul_f16_e32 v128, 0xba0c, v80
	v_add_f16_e32 v26, v27, v26
	v_fma_f16 v27, v58, s14, -v127
	v_fma_f16 v129, v60, s19, v128
	v_mul_f16_e32 v72, 0x36a6, v72
	v_add_f16_e32 v26, v27, v26
	v_fma_f16 v27, v60, s19, -v128
	v_add_f16_e32 v124, v129, v124
	v_fma_f16 v129, v55, s28, v72
	v_mul_f16_e32 v76, 0xb93d, v76
	v_add_f16_e32 v26, v27, v26
	v_fma_f16 v27, v55, s17, v72
	v_add_f16_e32 v129, v41, v129
	v_fma_f16 v130, v57, s27, v76
	v_mul_f16_e32 v79, 0xbbad, v79
	v_add_f16_e32 v20, v28, v20
	v_add_f16_e32 v27, v41, v27
	v_fma_f16 v28, v57, s21, v76
	v_add_f16_e32 v129, v130, v129
	v_fma_f16 v130, v59, s24, v79
	v_mul_f16_e32 v81, 0xb08e, v81
	v_add_f16_e32 v27, v28, v27
	v_fma_f16 v28, v59, s23, v79
	v_mul_f16_e32 v83, 0x3abb, v53
	v_mul_f16_e32 v84, 0xb853, v55
	v_add_f16_e32 v129, v130, v129
	v_fma_f16 v130, v61, s22, v81
	v_mul_f16_e32 v82, 0x3abb, v82
	v_add_f16_e32 v27, v28, v27
	v_fma_f16 v28, v61, s25, v81
	v_mul_f16_e32 v85, 0x36a6, v54
	v_mul_f16_e32 v86, 0xbb47, v57
	v_add_f16_e32 v129, v130, v129
	v_fma_f16 v130, v62, s18, v82
	v_mul_f16_e32 v68, 0xbb47, v68
	v_sub_f16_e32 v65, v65, v84
	v_add_f16_e32 v63, v83, v63
	v_add_f16_e32 v27, v28, v27
	v_fma_f16 v28, v62, s26, v82
	v_mul_f16_e32 v87, 0xb08e, v56
	v_mul_f16_e32 v88, 0xbbeb, v59
	v_add_f16_e32 v129, v130, v129
	v_fma_f16 v130, v53, s15, v68
	v_mul_f16_e32 v70, 0xba0c, v70
	v_add_f16_e32 v65, v41, v65
	v_sub_f16_e32 v67, v67, v86
	v_add_f16_e32 v63, v19, v63
	v_add_f16_e32 v64, v85, v64
	v_add_f16_e32 v27, v28, v27
	v_fma_f16 v28, v53, s15, -v68
	v_mul_f16_e32 v89, 0xb93d, v58
	v_mul_f16_e32 v90, 0xba0c, v61
	v_add_f16_e32 v130, v19, v130
	v_fma_f16 v131, v54, s19, v70
	v_mul_f16_e32 v73, 0x3482, v73
	v_add_f16_e32 v65, v67, v65
	v_sub_f16_e32 v67, v71, v88
	v_add_f16_e32 v63, v64, v63
	v_add_f16_e32 v64, v87, v66
	v_add_f16_e32 v19, v19, v28
	v_fma_f16 v28, v54, s19, -v70
	v_mul_f16_e32 v91, 0xbbad, v60
	v_mul_f16_e32 v92, 0xb482, v62
	v_add_f16_e32 v130, v131, v130
	v_fma_f16 v131, v56, s20, v73
	v_mul_f16_e32 v77, 0x3beb, v77
	v_add_f16_e32 v65, v67, v65
	v_sub_f16_e32 v67, v75, v90
	v_add_f16_e32 v63, v64, v63
	v_add_f16_e32 v64, v89, v69
	v_add_f16_e32 v19, v28, v19
	v_fma_f16 v28, v56, s20, -v73
	v_add_f16_e32 v130, v131, v130
	v_fma_f16 v131, v58, s16, v77
	v_mul_f16_e32 v80, 0x3853, v80
	v_add_f16_e32 v65, v67, v65
	v_sub_f16_e32 v67, v78, v92
	v_add_f16_e32 v63, v64, v63
	v_add_f16_e32 v64, v91, v74
	;; [unrolled: 1-line block ×3, first 2 shown]
	v_fma_f16 v28, v58, s16, -v77
	v_add_f16_e32 v130, v131, v130
	v_fma_f16 v131, v60, s14, v80
	v_add_f16_e32 v65, v67, v65
	v_add_f16_e32 v63, v64, v63
	v_add_f16_e32 v20, v51, v20
	v_add_f16_e32 v17, v52, v17
	v_add_f16_e32 v19, v28, v19
	v_fma_f16 v28, v60, s14, -v80
	v_add_f16_e32 v130, v131, v130
	v_add_f16_e32 v19, v28, v19
	v_lshl_add_u32 v28, v33, 2, v32
	v_pack_b32_f16 v32, v63, v65
	v_pack_b32_f16 v17, v20, v17
	ds_write2_b32 v28, v17, v32 offset1:1
	v_pack_b32_f16 v17, v124, v118
	v_pack_b32_f16 v20, v130, v129
	ds_write2_b32 v28, v20, v17 offset0:2 offset1:3
	v_pack_b32_f16 v17, v100, v94
	v_pack_b32_f16 v20, v112, v106
	ds_write2_b32 v28, v20, v17 offset0:4 offset1:5
	;; [unrolled: 3-line block ×3, first 2 shown]
	v_pack_b32_f16 v17, v19, v27
	v_pack_b32_f16 v19, v26, v25
	s_mov_b32 s14, 0x5040100
	ds_write2_b32 v28, v19, v17 offset0:8 offset1:9
	v_perm_b32 v17, v44, v18, s14
	ds_write_b32 v28, v17 offset:40
.LBB0_17:
	s_or_b64 exec, exec, s[4:5]
	s_waitcnt lgkmcnt(0)
	s_barrier
	ds_read2_b32 v[19:20], v34 offset1:33
	ds_read2_b32 v[21:22], v34 offset0:66 offset1:99
	ds_read2_b32 v[23:24], v34 offset0:132 offset1:165
	;; [unrolled: 1-line block ×3, first 2 shown]
	v_add_u32_e32 v27, 0x400, v34
	s_waitcnt lgkmcnt(3)
	v_lshrrev_b32_e32 v32, 16, v20
	v_mul_f16_sdwa v49, v0, v32 dst_sel:DWORD dst_unused:UNUSED_PAD src0_sel:WORD_1 src1_sel:DWORD
	s_waitcnt lgkmcnt(2)
	v_lshrrev_b32_e32 v33, 16, v21
	v_fma_f16 v49, v0, v20, v49
	v_mul_f16_sdwa v20, v0, v20 dst_sel:DWORD dst_unused:UNUSED_PAD src0_sel:WORD_1 src1_sel:DWORD
	v_fma_f16 v0, v0, v32, -v20
	v_mul_f16_sdwa v20, v1, v33 dst_sel:DWORD dst_unused:UNUSED_PAD src0_sel:WORD_1 src1_sel:DWORD
	v_lshrrev_b32_e32 v41, 16, v22
	v_fma_f16 v20, v1, v21, v20
	v_mul_f16_sdwa v21, v1, v21 dst_sel:DWORD dst_unused:UNUSED_PAD src0_sel:WORD_1 src1_sel:DWORD
	v_fma_f16 v1, v1, v33, -v21
	v_mul_f16_sdwa v21, v2, v41 dst_sel:DWORD dst_unused:UNUSED_PAD src0_sel:WORD_1 src1_sel:DWORD
	s_waitcnt lgkmcnt(1)
	v_lshrrev_b32_e32 v42, 16, v23
	v_fma_f16 v21, v2, v22, v21
	v_mul_f16_sdwa v22, v2, v22 dst_sel:DWORD dst_unused:UNUSED_PAD src0_sel:WORD_1 src1_sel:DWORD
	v_fma_f16 v2, v2, v41, -v22
	v_mul_f16_sdwa v22, v3, v42 dst_sel:DWORD dst_unused:UNUSED_PAD src0_sel:WORD_1 src1_sel:DWORD
	v_lshrrev_b32_e32 v43, 16, v24
	v_fma_f16 v22, v3, v23, v22
	v_mul_f16_sdwa v23, v3, v23 dst_sel:DWORD dst_unused:UNUSED_PAD src0_sel:WORD_1 src1_sel:DWORD
	ds_read2_b32 v[27:28], v27 offset0:8 offset1:41
	v_fma_f16 v3, v3, v42, -v23
	v_mul_f16_sdwa v23, v4, v43 dst_sel:DWORD dst_unused:UNUSED_PAD src0_sel:WORD_1 src1_sel:DWORD
	s_waitcnt lgkmcnt(1)
	v_lshrrev_b32_e32 v45, 16, v25
	v_fma_f16 v23, v4, v24, v23
	v_mul_f16_sdwa v24, v4, v24 dst_sel:DWORD dst_unused:UNUSED_PAD src0_sel:WORD_1 src1_sel:DWORD
	v_fma_f16 v4, v4, v43, -v24
	v_mul_f16_sdwa v24, v5, v45 dst_sel:DWORD dst_unused:UNUSED_PAD src0_sel:WORD_1 src1_sel:DWORD
	v_lshrrev_b32_e32 v46, 16, v26
	v_fma_f16 v24, v5, v25, v24
	v_mul_f16_sdwa v25, v5, v25 dst_sel:DWORD dst_unused:UNUSED_PAD src0_sel:WORD_1 src1_sel:DWORD
	v_fma_f16 v5, v5, v45, -v25
	v_mul_f16_sdwa v25, v6, v46 dst_sel:DWORD dst_unused:UNUSED_PAD src0_sel:WORD_1 src1_sel:DWORD
	s_waitcnt lgkmcnt(0)
	v_lshrrev_b32_e32 v47, 16, v27
	v_fma_f16 v25, v6, v26, v25
	v_mul_f16_sdwa v26, v6, v26 dst_sel:DWORD dst_unused:UNUSED_PAD src0_sel:WORD_1 src1_sel:DWORD
	v_fma_f16 v6, v6, v46, -v26
	v_mul_f16_sdwa v26, v7, v47 dst_sel:DWORD dst_unused:UNUSED_PAD src0_sel:WORD_1 src1_sel:DWORD
	v_lshrrev_b32_e32 v48, 16, v28
	v_fma_f16 v26, v7, v27, v26
	v_mul_f16_sdwa v27, v7, v27 dst_sel:DWORD dst_unused:UNUSED_PAD src0_sel:WORD_1 src1_sel:DWORD
	v_fma_f16 v7, v7, v47, -v27
	v_mul_f16_sdwa v27, v35, v48 dst_sel:DWORD dst_unused:UNUSED_PAD src0_sel:WORD_1 src1_sel:DWORD
	v_fma_f16 v27, v35, v28, v27
	v_mul_f16_sdwa v28, v35, v28 dst_sel:DWORD dst_unused:UNUSED_PAD src0_sel:WORD_1 src1_sel:DWORD
	v_add_f16_e32 v33, v22, v24
	v_fma_f16 v28, v35, v48, -v28
	v_fma_f16 v33, v33, -0.5, v19
	v_sub_f16_e32 v35, v1, v7
	s_mov_b32 s4, 0xbb9c
	s_movk_i32 s15, 0x3b9c
	v_fma_f16 v41, v35, s4, v33
	v_sub_f16_e32 v42, v3, v5
	s_mov_b32 s5, 0xb8b4
	v_sub_f16_e32 v43, v20, v22
	v_sub_f16_e32 v45, v26, v24
	v_fma_f16 v33, v35, s15, v33
	s_movk_i32 s16, 0x38b4
	v_fma_f16 v41, v42, s5, v41
	v_add_f16_e32 v43, v43, v45
	s_movk_i32 s14, 0x34f2
	v_fma_f16 v33, v42, s16, v33
	v_fma_f16 v41, v43, s14, v41
	;; [unrolled: 1-line block ×3, first 2 shown]
	v_add_f16_e32 v43, v20, v26
	v_lshrrev_b32_e32 v17, 16, v19
	v_add_f16_e32 v32, v19, v20
	v_fma_f16 v19, v43, -0.5, v19
	v_add_f16_e32 v32, v32, v22
	v_fma_f16 v43, v42, s15, v19
	v_fma_f16 v19, v42, s4, v19
	v_add_f16_e32 v42, v3, v5
	v_add_f16_e32 v32, v32, v24
	v_sub_f16_e32 v45, v22, v20
	v_sub_f16_e32 v46, v24, v26
	v_fma_f16 v42, v42, -0.5, v17
	v_sub_f16_e32 v20, v20, v26
	v_add_f16_e32 v32, v32, v26
	v_fma_f16 v43, v35, s5, v43
	v_add_f16_e32 v45, v45, v46
	v_fma_f16 v19, v35, s16, v19
	v_fma_f16 v26, v20, s15, v42
	v_sub_f16_e32 v22, v22, v24
	v_fma_f16 v43, v45, s14, v43
	v_fma_f16 v19, v45, s14, v19
	;; [unrolled: 1-line block ×3, first 2 shown]
	v_sub_f16_e32 v26, v1, v3
	v_sub_f16_e32 v45, v7, v5
	v_fma_f16 v42, v20, s4, v42
	v_add_f16_e32 v35, v17, v1
	v_add_f16_e32 v26, v26, v45
	v_fma_f16 v42, v22, s5, v42
	v_add_f16_e32 v35, v35, v3
	v_fma_f16 v24, v26, s14, v24
	v_fma_f16 v26, v26, s14, v42
	v_add_f16_e32 v42, v1, v7
	v_add_f16_e32 v35, v35, v5
	v_fma_f16 v17, v42, -0.5, v17
	v_add_f16_e32 v35, v35, v7
	v_fma_f16 v42, v22, s4, v17
	v_sub_f16_e32 v1, v3, v1
	v_sub_f16_e32 v3, v5, v7
	v_add_f16_e32 v7, v23, v25
	v_fma_f16 v42, v20, s16, v42
	v_add_f16_e32 v1, v1, v3
	v_fma_f16 v5, v22, s15, v17
	v_fma_f16 v7, v7, -0.5, v49
	v_sub_f16_e32 v17, v2, v28
	v_fma_f16 v3, v1, s14, v42
	v_fma_f16 v5, v20, s5, v5
	;; [unrolled: 1-line block ×3, first 2 shown]
	v_sub_f16_e32 v22, v4, v6
	v_sub_f16_e32 v42, v21, v23
	;; [unrolled: 1-line block ×3, first 2 shown]
	v_fma_f16 v7, v17, s15, v7
	v_fma_f16 v20, v22, s5, v20
	v_add_f16_e32 v42, v42, v45
	v_fma_f16 v7, v22, s16, v7
	v_fma_f16 v20, v42, s14, v20
	;; [unrolled: 1-line block ×3, first 2 shown]
	v_add_f16_e32 v42, v21, v27
	v_fma_f16 v1, v1, s14, v5
	v_add_f16_e32 v5, v49, v21
	v_fma_f16 v42, v42, -0.5, v49
	v_add_f16_e32 v5, v5, v23
	v_fma_f16 v45, v22, s15, v42
	v_fma_f16 v22, v22, s4, v42
	v_add_f16_e32 v42, v4, v6
	v_add_f16_e32 v5, v5, v25
	v_sub_f16_e32 v46, v23, v21
	v_sub_f16_e32 v47, v25, v27
	v_fma_f16 v42, v42, -0.5, v0
	v_sub_f16_e32 v21, v21, v27
	v_add_f16_e32 v5, v5, v27
	v_fma_f16 v45, v17, s5, v45
	v_add_f16_e32 v46, v46, v47
	v_fma_f16 v17, v17, s16, v22
	v_fma_f16 v27, v21, s15, v42
	v_sub_f16_e32 v23, v23, v25
	v_fma_f16 v45, v46, s14, v45
	v_fma_f16 v17, v46, s14, v17
	;; [unrolled: 1-line block ×3, first 2 shown]
	v_sub_f16_e32 v27, v2, v4
	v_sub_f16_e32 v46, v28, v6
	v_fma_f16 v42, v21, s4, v42
	v_add_f16_e32 v27, v27, v46
	v_fma_f16 v42, v23, s5, v42
	v_fma_f16 v25, v27, s14, v25
	;; [unrolled: 1-line block ×3, first 2 shown]
	v_add_f16_e32 v42, v2, v28
	v_add_f16_e32 v22, v0, v2
	v_fma_f16 v0, v42, -0.5, v0
	v_add_f16_e32 v22, v22, v4
	v_fma_f16 v42, v23, s4, v0
	v_sub_f16_e32 v2, v4, v2
	v_sub_f16_e32 v4, v6, v28
	v_fma_f16 v0, v23, s15, v0
	v_fma_f16 v42, v21, s16, v42
	v_add_f16_e32 v2, v2, v4
	v_fma_f16 v0, v21, s5, v0
	v_add_f16_e32 v22, v22, v6
	v_fma_f16 v4, v2, s14, v42
	v_fma_f16 v0, v2, s14, v0
	v_mul_f16_e32 v6, 0xb8b4, v25
	s_movk_i32 s4, 0x3a79
	v_mul_f16_e32 v25, 0x3a79, v25
	v_add_f16_e32 v22, v22, v28
	v_fma_f16 v6, v20, s4, v6
	v_mul_f16_e32 v23, 0xbb9c, v4
	v_mul_f16_e32 v42, 0xbb9c, v0
	s_mov_b32 s4, 0xb4f2
	v_fma_f16 v20, v20, s16, v25
	v_mul_f16_e32 v4, 0x34f2, v4
	v_mul_f16_e32 v0, 0xb4f2, v0
	v_add_f16_e32 v2, v32, v5
	v_add_f16_e32 v21, v41, v6
	v_fma_f16 v23, v45, s14, v23
	v_fma_f16 v42, v17, s4, v42
	v_mul_f16_e32 v47, 0xb8b4, v27
	s_mov_b32 s4, 0xba79
	v_add_f16_e32 v49, v35, v22
	v_add_f16_e32 v25, v24, v20
	v_fma_f16 v4, v45, s15, v4
	v_fma_f16 v0, v17, s15, v0
	v_mul_f16_e32 v17, 0xba79, v27
	v_add_f16_e32 v28, v43, v23
	v_add_f16_e32 v46, v19, v42
	v_fma_f16 v47, v7, s4, v47
	v_add_f16_e32 v45, v3, v4
	v_add_f16_e32 v50, v1, v0
	v_fma_f16 v7, v7, s16, v17
	v_sub_f16_e32 v0, v1, v0
	v_pack_b32_f16 v1, v2, v49
	v_pack_b32_f16 v2, v21, v25
	v_add_f16_e32 v48, v33, v47
	v_add_f16_e32 v27, v26, v7
	v_sub_f16_e32 v5, v32, v5
	v_sub_f16_e32 v22, v35, v22
	s_barrier
	ds_write2_b32 v37, v1, v2 offset1:11
	v_pack_b32_f16 v1, v28, v45
	v_pack_b32_f16 v2, v46, v50
	v_sub_f16_e32 v6, v41, v6
	v_sub_f16_e32 v23, v43, v23
	;; [unrolled: 1-line block ×4, first 2 shown]
	ds_write2_b32 v37, v1, v2 offset0:22 offset1:33
	v_pack_b32_f16 v1, v48, v27
	v_pack_b32_f16 v2, v5, v22
	v_sub_f16_e32 v32, v19, v42
	v_sub_f16_e32 v17, v33, v47
	v_sub_f16_e32 v19, v26, v7
	ds_write2_b32 v37, v1, v2 offset0:44 offset1:55
	v_pack_b32_f16 v1, v6, v20
	v_pack_b32_f16 v2, v23, v3
	ds_write2_b32 v37, v1, v2 offset0:66 offset1:77
	v_pack_b32_f16 v0, v32, v0
	v_pack_b32_f16 v1, v17, v19
	ds_write2_b32 v37, v0, v1 offset0:88 offset1:99
	s_waitcnt lgkmcnt(0)
	s_barrier
	ds_read2_b32 v[2:3], v34 offset1:33
	ds_read2_b32 v[0:1], v34 offset0:66 offset1:110
	ds_read2_b32 v[6:7], v34 offset0:220 offset1:253
	;; [unrolled: 1-line block ×3, first 2 shown]
	ds_read_b32 v22, v34 offset:1144
	v_add_u32_e32 v21, 0x84, v40
	v_add_u32_e32 v20, 0x108, v40
	s_and_saveexec_b64 s[4:5], s[2:3]
	s_cbranch_execz .LBB0_19
; %bb.18:
	ds_read2_b32 v[17:18], v34 offset0:99 offset1:209
	ds_read_b32 v38, v34 offset:1276
	s_waitcnt lgkmcnt(1)
	v_lshrrev_b32_e32 v19, 16, v17
	v_lshrrev_b32_e32 v44, 16, v18
	s_waitcnt lgkmcnt(0)
	v_lshrrev_b32_e32 v39, 16, v38
.LBB0_19:
	s_or_b64 exec, exec, s[4:5]
	s_waitcnt lgkmcnt(3)
	v_lshrrev_b32_e32 v24, 16, v1
	v_mul_f16_sdwa v35, v11, v24 dst_sel:DWORD dst_unused:UNUSED_PAD src0_sel:WORD_1 src1_sel:DWORD
	s_waitcnt lgkmcnt(2)
	v_lshrrev_b32_e32 v25, 16, v6
	v_fma_f16 v35, v11, v1, v35
	v_mul_f16_sdwa v1, v11, v1 dst_sel:DWORD dst_unused:UNUSED_PAD src0_sel:WORD_1 src1_sel:DWORD
	v_fma_f16 v1, v11, v24, -v1
	v_mul_f16_sdwa v11, v12, v25 dst_sel:DWORD dst_unused:UNUSED_PAD src0_sel:WORD_1 src1_sel:DWORD
	s_waitcnt lgkmcnt(1)
	v_lshrrev_b32_e32 v27, 16, v4
	v_fma_f16 v11, v12, v6, v11
	v_mul_f16_sdwa v6, v12, v6 dst_sel:DWORD dst_unused:UNUSED_PAD src0_sel:WORD_1 src1_sel:DWORD
	v_fma_f16 v6, v12, v25, -v6
	v_mul_f16_sdwa v12, v13, v27 dst_sel:DWORD dst_unused:UNUSED_PAD src0_sel:WORD_1 src1_sel:DWORD
	v_lshrrev_b32_e32 v28, 16, v7
	v_fma_f16 v12, v13, v4, v12
	v_mul_f16_sdwa v4, v13, v4 dst_sel:DWORD dst_unused:UNUSED_PAD src0_sel:WORD_1 src1_sel:DWORD
	v_fma_f16 v4, v13, v27, -v4
	v_mul_f16_sdwa v13, v14, v28 dst_sel:DWORD dst_unused:UNUSED_PAD src0_sel:WORD_1 src1_sel:DWORD
	;; [unrolled: 5-line block ×3, first 2 shown]
	s_waitcnt lgkmcnt(0)
	v_lshrrev_b32_e32 v34, 16, v22
	v_fma_f16 v14, v15, v5, v14
	v_mul_f16_sdwa v5, v15, v5 dst_sel:DWORD dst_unused:UNUSED_PAD src0_sel:WORD_1 src1_sel:DWORD
	v_fma_f16 v5, v15, v33, -v5
	v_mul_f16_sdwa v15, v16, v34 dst_sel:DWORD dst_unused:UNUSED_PAD src0_sel:WORD_1 src1_sel:DWORD
	v_fma_f16 v15, v16, v22, v15
	v_mul_f16_sdwa v22, v16, v22 dst_sel:DWORD dst_unused:UNUSED_PAD src0_sel:WORD_1 src1_sel:DWORD
	v_add_f16_e32 v24, v35, v11
	v_lshrrev_b32_e32 v23, 16, v2
	v_fma_f16 v16, v16, v34, -v22
	v_add_f16_e32 v22, v2, v35
	v_fma_f16 v2, v24, -0.5, v2
	v_sub_f16_e32 v24, v1, v6
	s_mov_b32 s14, 0xbaee
	s_movk_i32 s15, 0x3aee
	v_fma_f16 v25, v24, s14, v2
	v_fma_f16 v2, v24, s15, v2
	v_add_f16_e32 v24, v23, v1
	v_add_f16_e32 v1, v1, v6
	;; [unrolled: 1-line block ×3, first 2 shown]
	v_fma_f16 v1, v1, -0.5, v23
	v_sub_f16_e32 v6, v35, v11
	v_add_f16_e32 v23, v12, v13
	v_lshrrev_b32_e32 v26, 16, v3
	v_add_f16_e32 v22, v22, v11
	v_fma_f16 v11, v6, s15, v1
	v_fma_f16 v1, v6, s14, v1
	v_add_f16_e32 v6, v3, v12
	v_fma_f16 v3, v23, -0.5, v3
	v_sub_f16_e32 v23, v4, v7
	v_fma_f16 v27, v23, s14, v3
	v_fma_f16 v3, v23, s15, v3
	v_add_f16_e32 v23, v26, v4
	v_add_f16_e32 v4, v4, v7
	v_add_f16_e32 v6, v6, v13
	v_add_f16_e32 v23, v23, v7
	v_fma_f16 v4, v4, -0.5, v26
	v_sub_f16_e32 v7, v12, v13
	v_add_f16_e32 v13, v14, v15
	v_lshrrev_b32_e32 v32, 16, v0
	v_fma_f16 v12, v7, s15, v4
	v_fma_f16 v4, v7, s14, v4
	v_add_f16_e32 v7, v0, v14
	v_fma_f16 v0, v13, -0.5, v0
	v_sub_f16_e32 v13, v5, v16
	v_fma_f16 v26, v13, s14, v0
	v_fma_f16 v0, v13, s15, v0
	v_add_f16_e32 v13, v32, v5
	v_add_f16_e32 v5, v5, v16
	v_fma_f16 v5, v5, -0.5, v32
	v_sub_f16_e32 v14, v14, v15
	v_pack_b32_f16 v11, v25, v11
	v_pack_b32_f16 v1, v2, v1
	v_add_f16_e32 v7, v7, v15
	v_fma_f16 v15, v14, s15, v5
	v_fma_f16 v5, v14, s14, v5
	v_pack_b32_f16 v14, v22, v24
	ds_write2_b32 v36, v11, v1 offset0:110 offset1:220
	v_pack_b32_f16 v1, v6, v23
	v_add_f16_e32 v13, v13, v16
	ds_write2_b32 v36, v14, v1 offset1:33
	v_pack_b32_f16 v1, v27, v12
	v_pack_b32_f16 v2, v3, v4
	ds_write2_b32 v21, v1, v2 offset0:110 offset1:220
	v_pack_b32_f16 v1, v7, v13
	ds_write_b32 v36, v1 offset:264
	v_pack_b32_f16 v1, v26, v15
	v_pack_b32_f16 v0, v0, v5
	v_lshl_add_u32 v7, v31, 2, v29
	ds_write2_b32 v20, v1, v0 offset0:110 offset1:220
	s_and_saveexec_b64 s[4:5], s[2:3]
	s_cbranch_execz .LBB0_21
; %bb.20:
	v_mul_f16_sdwa v0, v9, v18 dst_sel:DWORD dst_unused:UNUSED_PAD src0_sel:WORD_1 src1_sel:DWORD
	v_mul_f16_sdwa v1, v10, v38 dst_sel:DWORD dst_unused:UNUSED_PAD src0_sel:WORD_1 src1_sel:DWORD
	v_fma_f16 v0, v9, v44, -v0
	v_fma_f16 v1, v10, v39, -v1
	v_mul_f16_sdwa v3, v9, v44 dst_sel:DWORD dst_unused:UNUSED_PAD src0_sel:WORD_1 src1_sel:DWORD
	v_mul_f16_sdwa v4, v10, v39 dst_sel:DWORD dst_unused:UNUSED_PAD src0_sel:WORD_1 src1_sel:DWORD
	v_add_f16_e32 v2, v0, v1
	v_fma_f16 v3, v9, v18, v3
	v_fma_f16 v4, v10, v38, v4
	v_fma_f16 v2, v2, -0.5, v19
	v_sub_f16_e32 v5, v3, v4
	v_add_f16_e32 v9, v3, v4
	v_fma_f16 v6, v5, s14, v2
	v_fma_f16 v2, v5, s15, v2
	v_add_f16_e32 v5, v19, v0
	v_fma_f16 v9, v9, -0.5, v17
	v_sub_f16_e32 v0, v0, v1
	v_add_f16_e32 v3, v17, v3
	v_add_f16_e32 v5, v5, v1
	v_fma_f16 v1, v0, s15, v9
	v_fma_f16 v0, v0, s14, v9
	v_add_f16_e32 v3, v3, v4
	v_pack_b32_f16 v3, v3, v5
	v_pack_b32_f16 v0, v0, v2
	ds_write2_b32 v7, v3, v0 offset0:99 offset1:209
	v_pack_b32_f16 v0, v1, v6
	ds_write_b32 v7, v0 offset:1276
.LBB0_21:
	s_or_b64 exec, exec, s[4:5]
	s_waitcnt lgkmcnt(0)
	s_barrier
	s_and_b64 exec, exec, s[0:1]
	s_cbranch_execz .LBB0_23
; %bb.22:
	global_load_dword v11, v29, s[6:7]
	global_load_dword v10, v29, s[6:7] offset:120
	ds_read_b32 v17, v36
	v_mad_u64_u32 v[2:3], s[0:1], s10, v8, 0
	v_mad_u64_u32 v[4:5], s[0:1], s8, v30, 0
	v_mov_b32_e32 v6, 0x7c00
	ds_read2_b32 v[0:1], v7 offset0:30 offset1:60
	v_mad_u64_u32 v[18:19], s[0:1], s11, v8, v[3:4]
	s_waitcnt lgkmcnt(1)
	v_lshrrev_b32_e32 v3, 16, v17
	v_mad_u64_u32 v[21:22], s[0:1], s9, v30, v[5:6]
	s_mov_b32 s14, 0x8d3018d3
	s_mov_b32 s15, 0x3f68d301
	global_load_dword v12, v29, s[6:7] offset:240
	global_load_dword v13, v29, s[6:7] offset:360
	;; [unrolled: 1-line block ×6, first 2 shown]
	s_movk_i32 s18, 0x1ff
	s_movk_i32 s17, 0xffe
	v_mov_b32_e32 v5, v21
	s_movk_i32 s16, 0x40f
	s_mov_b32 s10, 0x8000
	s_waitcnt vmcnt(7)
	v_mul_f16_sdwa v8, v3, v11 dst_sel:DWORD dst_unused:UNUSED_PAD src0_sel:DWORD src1_sel:WORD_1
	v_fma_f16 v8, v17, v11, v8
	v_mul_f16_sdwa v17, v17, v11 dst_sel:DWORD dst_unused:UNUSED_PAD src0_sel:DWORD src1_sel:WORD_1
	v_cvt_f32_f16_e32 v8, v8
	v_fma_f16 v3, v11, v3, -v17
	v_cvt_f32_f16_e32 v3, v3
	v_cvt_f64_f32_e32 v[19:20], v8
	s_waitcnt lgkmcnt(0)
	v_lshrrev_b32_e32 v8, 16, v0
	v_cvt_f64_f32_e32 v[22:23], v3
	s_waitcnt vmcnt(6)
	v_mul_f16_sdwa v3, v8, v10 dst_sel:DWORD dst_unused:UNUSED_PAD src0_sel:DWORD src1_sel:WORD_1
	v_mul_f64 v[19:20], v[19:20], s[14:15]
	v_fma_f16 v3, v0, v10, v3
	v_mul_f64 v[22:23], v[22:23], s[14:15]
	v_cvt_f32_f16_e32 v11, v3
	v_mov_b32_e32 v3, v18
	v_lshlrev_b64 v[2:3], 2, v[2:3]
	v_mul_f16_sdwa v0, v0, v10 dst_sel:DWORD dst_unused:UNUSED_PAD src0_sel:DWORD src1_sel:WORD_1
	v_cvt_f64_f32_e32 v[17:18], v11
	v_and_or_b32 v11, v20, s18, v19
	v_cmp_ne_u32_e32 vcc, 0, v11
	v_and_or_b32 v22, v23, s18, v22
	v_lshrrev_b32_e32 v19, 8, v20
	v_bfe_u32 v21, v20, 20, 11
	v_cndmask_b32_e64 v11, 0, 1, vcc
	v_cmp_ne_u32_e32 vcc, 0, v22
	v_lshrrev_b32_e32 v24, 8, v23
	v_bfe_u32 v25, v23, 20, 11
	v_sub_u32_e32 v26, 0x3f1, v21
	v_cndmask_b32_e64 v22, 0, 1, vcc
	v_and_or_b32 v11, v19, s17, v11
	v_sub_u32_e32 v27, 0x3f1, v25
	v_med3_i32 v19, v26, 0, 13
	v_and_or_b32 v22, v24, s17, v22
	v_or_b32_e32 v26, 0x1000, v11
	v_add_u32_e32 v21, 0xfffffc10, v21
	v_med3_i32 v24, v27, 0, 13
	v_cmp_ne_u32_e32 vcc, 0, v11
	v_or_b32_e32 v28, 0x1000, v22
	v_lshrrev_b32_e32 v31, v19, v26
	v_add_u32_e32 v25, 0xfffffc10, v25
	v_lshl_or_b32 v27, v21, 12, v11
	v_cndmask_b32_e64 v11, 0, 1, vcc
	v_cmp_ne_u32_e32 vcc, 0, v22
	v_lshrrev_b32_e32 v32, v24, v28
	v_lshlrev_b32_e32 v19, v19, v31
	v_lshl_or_b32 v30, v25, 12, v22
	v_cndmask_b32_e64 v22, 0, 1, vcc
	v_lshlrev_b32_e32 v24, v24, v32
	v_cmp_ne_u32_e32 vcc, v19, v26
	v_cndmask_b32_e64 v19, 0, 1, vcc
	v_cmp_ne_u32_e32 vcc, v24, v28
	v_cndmask_b32_e64 v24, 0, 1, vcc
	v_or_b32_e32 v19, v31, v19
	v_cmp_gt_i32_e32 vcc, 1, v21
	v_cndmask_b32_e32 v19, v27, v19, vcc
	v_or_b32_e32 v24, v32, v24
	v_cmp_gt_i32_e32 vcc, 1, v25
	v_and_b32_e32 v26, 7, v19
	v_cndmask_b32_e32 v24, v30, v24, vcc
	v_cmp_lt_i32_e32 vcc, 5, v26
	v_cmp_eq_u32_e64 s[0:1], 3, v26
	v_lshrrev_b32_e32 v19, 2, v19
	v_and_b32_e32 v27, 7, v24
	s_or_b64 vcc, s[0:1], vcc
	v_cmp_lt_i32_e64 s[2:3], 5, v27
	v_cmp_eq_u32_e64 s[4:5], 3, v27
	v_addc_co_u32_e32 v19, vcc, 0, v19, vcc
	v_lshrrev_b32_e32 v24, 2, v24
	s_or_b64 vcc, s[4:5], s[2:3]
	v_addc_co_u32_e32 v24, vcc, 0, v24, vcc
	v_cmp_gt_i32_e32 vcc, 31, v21
	v_cndmask_b32_e32 v19, v6, v19, vcc
	v_cmp_gt_i32_e32 vcc, 31, v25
	v_lshl_or_b32 v11, v11, 9, v6
	v_cndmask_b32_e32 v24, v6, v24, vcc
	v_cmp_eq_u32_e32 vcc, s16, v21
	v_mul_f64 v[17:18], v[17:18], s[14:15]
	v_lshrrev_b32_e32 v20, 16, v20
	v_lshl_or_b32 v22, v22, 9, v6
	v_cndmask_b32_e32 v11, v19, v11, vcc
	v_cmp_eq_u32_e32 vcc, s16, v25
	v_lshrrev_b32_e32 v23, 16, v23
	v_cndmask_b32_e32 v19, v24, v22, vcc
	v_and_or_b32 v11, v20, s10, v11
	v_and_or_b32 v19, v23, s10, v19
	v_and_b32_e32 v11, 0xffff, v11
	v_lshl_or_b32 v11, v19, 16, v11
	v_mov_b32_e32 v19, s13
	v_add_co_u32_e32 v20, vcc, s12, v2
	v_addc_co_u32_e32 v19, vcc, v19, v3, vcc
	v_lshlrev_b64 v[2:3], 2, v[4:5]
	v_and_or_b32 v4, v18, s18, v17
	v_add_co_u32_e32 v2, vcc, v20, v2
	v_addc_co_u32_e32 v3, vcc, v19, v3, vcc
	v_cmp_ne_u32_e32 vcc, 0, v4
	v_cndmask_b32_e64 v4, 0, 1, vcc
	v_lshrrev_b32_e32 v5, 8, v18
	global_store_dword v[2:3], v11, off
	v_and_or_b32 v11, v5, s17, v4
	v_bfe_u32 v5, v18, 20, 11
	v_sub_u32_e32 v17, 0x3f1, v5
	v_or_b32_e32 v4, 0x1000, v11
	v_med3_i32 v17, v17, 0, 13
	v_lshrrev_b32_e32 v19, v17, v4
	v_lshlrev_b32_e32 v17, v17, v19
	v_cmp_ne_u32_e32 vcc, v17, v4
	v_fma_f16 v0, v10, v8, -v0
	v_cndmask_b32_e64 v4, 0, 1, vcc
	v_add_u32_e32 v17, 0xfffffc10, v5
	v_cvt_f32_f16_e32 v0, v0
	v_or_b32_e32 v4, v19, v4
	v_lshl_or_b32 v5, v17, 12, v11
	v_cmp_gt_i32_e32 vcc, 1, v17
	v_cndmask_b32_e32 v4, v5, v4, vcc
	v_and_b32_e32 v5, 7, v4
	v_cmp_lt_i32_e32 vcc, 5, v5
	v_cmp_eq_u32_e64 s[0:1], 3, v5
	v_lshrrev_b32_e32 v8, 2, v4
	v_cvt_f64_f32_e32 v[4:5], v0
	s_or_b64 vcc, s[0:1], vcc
	v_addc_co_u32_e32 v0, vcc, 0, v8, vcc
	v_mul_f64 v[4:5], v[4:5], s[14:15]
	v_cmp_gt_i32_e32 vcc, 31, v17
	v_cndmask_b32_e32 v0, v6, v0, vcc
	v_cmp_ne_u32_e32 vcc, 0, v11
	v_cndmask_b32_e64 v8, 0, 1, vcc
	v_lshl_or_b32 v8, v8, 9, v6
	v_cmp_eq_u32_e32 vcc, s16, v17
	v_cndmask_b32_e32 v0, v0, v8, vcc
	v_and_or_b32 v4, v5, s18, v4
	v_lshrrev_b32_e32 v8, 16, v18
	v_cmp_ne_u32_e32 vcc, 0, v4
	v_and_or_b32 v0, v8, s10, v0
	v_cndmask_b32_e64 v4, 0, 1, vcc
	v_lshrrev_b32_e32 v8, 8, v5
	v_bfe_u32 v10, v5, 20, 11
	v_and_or_b32 v4, v8, s17, v4
	v_sub_u32_e32 v11, 0x3f1, v10
	v_or_b32_e32 v8, 0x1000, v4
	v_med3_i32 v11, v11, 0, 13
	v_lshrrev_b32_e32 v17, v11, v8
	v_lshlrev_b32_e32 v11, v11, v17
	v_cmp_ne_u32_e32 vcc, v11, v8
	v_cndmask_b32_e64 v8, 0, 1, vcc
	v_add_u32_e32 v10, 0xfffffc10, v10
	v_or_b32_e32 v8, v17, v8
	v_lshl_or_b32 v11, v10, 12, v4
	v_cmp_gt_i32_e32 vcc, 1, v10
	v_cndmask_b32_e32 v8, v11, v8, vcc
	v_and_b32_e32 v11, 7, v8
	v_cmp_lt_i32_e32 vcc, 5, v11
	v_cmp_eq_u32_e64 s[0:1], 3, v11
	v_lshrrev_b32_e32 v8, 2, v8
	s_or_b64 vcc, s[0:1], vcc
	v_addc_co_u32_e32 v8, vcc, 0, v8, vcc
	v_cmp_gt_i32_e32 vcc, 31, v10
	v_cndmask_b32_e32 v8, v6, v8, vcc
	v_cmp_ne_u32_e32 vcc, 0, v4
	v_cndmask_b32_e64 v4, 0, 1, vcc
	v_lshl_or_b32 v4, v4, 9, v6
	v_cmp_eq_u32_e32 vcc, s16, v10
	v_cndmask_b32_e32 v4, v8, v4, vcc
	v_lshrrev_b32_e32 v8, 16, v1
	s_waitcnt vmcnt(6)
	v_mul_f16_sdwa v10, v8, v12 dst_sel:DWORD dst_unused:UNUSED_PAD src0_sel:DWORD src1_sel:WORD_1
	v_fma_f16 v10, v1, v12, v10
	v_cvt_f32_f16_e32 v10, v10
	v_lshrrev_b32_e32 v5, 16, v5
	v_and_or_b32 v4, v5, s10, v4
	v_and_b32_e32 v0, 0xffff, v0
	v_lshl_or_b32 v0, v4, 16, v0
	v_cvt_f64_f32_e32 v[4:5], v10
	s_mul_i32 s0, s9, 0x78
	s_mul_hi_u32 s2, s8, 0x78
	s_add_i32 s2, s2, s0
	v_mul_f64 v[4:5], v[4:5], s[14:15]
	s_mul_i32 s3, s8, 0x78
	v_mov_b32_e32 v10, s2
	v_add_co_u32_e32 v2, vcc, s3, v2
	v_addc_co_u32_e32 v3, vcc, v3, v10, vcc
	global_store_dword v[2:3], v0, off
	v_and_or_b32 v0, v5, s18, v4
	v_cmp_ne_u32_e32 vcc, 0, v0
	v_cndmask_b32_e64 v0, 0, 1, vcc
	v_lshrrev_b32_e32 v4, 8, v5
	v_bfe_u32 v10, v5, 20, 11
	v_and_or_b32 v4, v4, s17, v0
	v_sub_u32_e32 v11, 0x3f1, v10
	v_or_b32_e32 v0, 0x1000, v4
	v_med3_i32 v11, v11, 0, 13
	v_lshrrev_b32_e32 v17, v11, v0
	v_mul_f16_sdwa v1, v1, v12 dst_sel:DWORD dst_unused:UNUSED_PAD src0_sel:DWORD src1_sel:WORD_1
	v_lshlrev_b32_e32 v11, v11, v17
	v_fma_f16 v1, v12, v8, -v1
	v_cmp_ne_u32_e32 vcc, v11, v0
	v_cvt_f32_f16_e32 v1, v1
	v_cndmask_b32_e64 v0, 0, 1, vcc
	v_add_u32_e32 v10, 0xfffffc10, v10
	v_or_b32_e32 v0, v17, v0
	v_lshl_or_b32 v11, v10, 12, v4
	v_cmp_gt_i32_e32 vcc, 1, v10
	v_cndmask_b32_e32 v0, v11, v0, vcc
	v_and_b32_e32 v11, 7, v0
	v_lshrrev_b32_e32 v8, 2, v0
	v_cvt_f64_f32_e32 v[0:1], v1
	v_cmp_lt_i32_e32 vcc, 5, v11
	v_cmp_eq_u32_e64 s[0:1], 3, v11
	s_or_b64 vcc, s[0:1], vcc
	v_mul_f64 v[0:1], v[0:1], s[14:15]
	v_addc_co_u32_e32 v8, vcc, 0, v8, vcc
	v_cmp_gt_i32_e32 vcc, 31, v10
	v_cndmask_b32_e32 v8, v6, v8, vcc
	v_cmp_ne_u32_e32 vcc, 0, v4
	v_cndmask_b32_e64 v4, 0, 1, vcc
	v_lshl_or_b32 v4, v4, 9, v6
	v_cmp_eq_u32_e32 vcc, s16, v10
	v_and_or_b32 v0, v1, s18, v0
	v_cndmask_b32_e32 v4, v8, v4, vcc
	v_lshrrev_b32_e32 v5, 16, v5
	v_cmp_ne_u32_e32 vcc, 0, v0
	v_and_or_b32 v8, v5, s10, v4
	v_cndmask_b32_e64 v0, 0, 1, vcc
	v_lshrrev_b32_e32 v4, 8, v1
	v_bfe_u32 v5, v1, 20, 11
	v_and_or_b32 v0, v4, s17, v0
	v_sub_u32_e32 v10, 0x3f1, v5
	v_or_b32_e32 v4, 0x1000, v0
	v_med3_i32 v10, v10, 0, 13
	v_lshrrev_b32_e32 v11, v10, v4
	v_lshlrev_b32_e32 v10, v10, v11
	v_cmp_ne_u32_e32 vcc, v10, v4
	v_cndmask_b32_e64 v4, 0, 1, vcc
	v_add_u32_e32 v10, 0xfffffc10, v5
	v_or_b32_e32 v4, v11, v4
	v_lshl_or_b32 v5, v10, 12, v0
	v_cmp_gt_i32_e32 vcc, 1, v10
	v_cndmask_b32_e32 v4, v5, v4, vcc
	v_and_b32_e32 v5, 7, v4
	v_cmp_lt_i32_e32 vcc, 5, v5
	v_cmp_eq_u32_e64 s[0:1], 3, v5
	v_lshrrev_b32_e32 v4, 2, v4
	s_or_b64 vcc, s[0:1], vcc
	v_addc_co_u32_e32 v11, vcc, 0, v4, vcc
	ds_read2_b32 v[4:5], v7 offset0:90 offset1:120
	v_cmp_gt_i32_e32 vcc, 31, v10
	v_cndmask_b32_e32 v11, v6, v11, vcc
	v_cmp_ne_u32_e32 vcc, 0, v0
	v_cndmask_b32_e64 v0, 0, 1, vcc
	s_waitcnt lgkmcnt(0)
	v_lshrrev_b32_e32 v12, 16, v4
	s_waitcnt vmcnt(6)
	v_mul_f16_sdwa v17, v12, v13 dst_sel:DWORD dst_unused:UNUSED_PAD src0_sel:DWORD src1_sel:WORD_1
	v_fma_f16 v17, v4, v13, v17
	v_cvt_f32_f16_e32 v17, v17
	v_lshl_or_b32 v0, v0, 9, v6
	v_cmp_eq_u32_e32 vcc, s16, v10
	v_cndmask_b32_e32 v0, v11, v0, vcc
	v_cvt_f64_f32_e32 v[10:11], v17
	v_lshrrev_b32_e32 v1, 16, v1
	v_and_or_b32 v17, v1, s10, v0
	v_add_co_u32_e32 v2, vcc, s3, v2
	v_mul_f64 v[0:1], v[10:11], s[14:15]
	v_mov_b32_e32 v10, s2
	v_and_b32_e32 v8, 0xffff, v8
	v_addc_co_u32_e32 v3, vcc, v3, v10, vcc
	v_lshl_or_b32 v8, v17, 16, v8
	global_store_dword v[2:3], v8, off
	v_mul_f16_sdwa v4, v4, v13 dst_sel:DWORD dst_unused:UNUSED_PAD src0_sel:DWORD src1_sel:WORD_1
	v_and_or_b32 v0, v1, s18, v0
	v_cmp_ne_u32_e32 vcc, 0, v0
	v_cndmask_b32_e64 v0, 0, 1, vcc
	v_lshrrev_b32_e32 v8, 8, v1
	v_bfe_u32 v10, v1, 20, 11
	v_and_or_b32 v0, v8, s17, v0
	v_sub_u32_e32 v11, 0x3f1, v10
	v_or_b32_e32 v8, 0x1000, v0
	v_med3_i32 v11, v11, 0, 13
	v_lshrrev_b32_e32 v17, v11, v8
	v_lshlrev_b32_e32 v11, v11, v17
	v_cmp_ne_u32_e32 vcc, v11, v8
	v_cndmask_b32_e64 v8, 0, 1, vcc
	v_fma_f16 v4, v13, v12, -v4
	v_or_b32_e32 v8, v17, v8
	v_add_u32_e32 v17, 0xfffffc10, v10
	v_cvt_f32_f16_e32 v4, v4
	v_lshl_or_b32 v10, v17, 12, v0
	v_cmp_gt_i32_e32 vcc, 1, v17
	v_cndmask_b32_e32 v8, v10, v8, vcc
	v_and_b32_e32 v10, 7, v8
	v_cmp_lt_i32_e32 vcc, 5, v10
	v_cmp_eq_u32_e64 s[0:1], 3, v10
	v_cvt_f64_f32_e32 v[10:11], v4
	v_lshrrev_b32_e32 v8, 2, v8
	s_or_b64 vcc, s[0:1], vcc
	v_addc_co_u32_e32 v4, vcc, 0, v8, vcc
	v_mul_f64 v[10:11], v[10:11], s[14:15]
	v_cmp_gt_i32_e32 vcc, 31, v17
	v_cndmask_b32_e32 v4, v6, v4, vcc
	v_cmp_ne_u32_e32 vcc, 0, v0
	v_cndmask_b32_e64 v0, 0, 1, vcc
	v_lshl_or_b32 v0, v0, 9, v6
	v_cmp_eq_u32_e32 vcc, s16, v17
	v_cndmask_b32_e32 v0, v4, v0, vcc
	v_lshrrev_b32_e32 v1, 16, v1
	v_and_or_b32 v4, v1, s10, v0
	v_and_or_b32 v0, v11, s18, v10
	v_cmp_ne_u32_e32 vcc, 0, v0
	v_cndmask_b32_e64 v0, 0, 1, vcc
	v_lshrrev_b32_e32 v1, 8, v11
	v_bfe_u32 v8, v11, 20, 11
	v_and_or_b32 v0, v1, s17, v0
	v_sub_u32_e32 v10, 0x3f1, v8
	v_or_b32_e32 v1, 0x1000, v0
	v_med3_i32 v10, v10, 0, 13
	v_lshrrev_b32_e32 v12, v10, v1
	v_lshlrev_b32_e32 v10, v10, v12
	v_cmp_ne_u32_e32 vcc, v10, v1
	v_cndmask_b32_e64 v1, 0, 1, vcc
	v_add_u32_e32 v8, 0xfffffc10, v8
	v_or_b32_e32 v1, v12, v1
	v_lshl_or_b32 v10, v8, 12, v0
	v_cmp_gt_i32_e32 vcc, 1, v8
	v_cndmask_b32_e32 v1, v10, v1, vcc
	v_and_b32_e32 v10, 7, v1
	v_cmp_lt_i32_e32 vcc, 5, v10
	v_cmp_eq_u32_e64 s[0:1], 3, v10
	v_lshrrev_b32_e32 v10, 16, v5
	v_lshrrev_b32_e32 v1, 2, v1
	s_or_b64 vcc, s[0:1], vcc
	s_waitcnt vmcnt(6)
	v_mul_f16_sdwa v12, v10, v14 dst_sel:DWORD dst_unused:UNUSED_PAD src0_sel:DWORD src1_sel:WORD_1
	v_addc_co_u32_e32 v1, vcc, 0, v1, vcc
	v_fma_f16 v12, v5, v14, v12
	v_cmp_gt_i32_e32 vcc, 31, v8
	v_cvt_f32_f16_e32 v12, v12
	v_cndmask_b32_e32 v1, v6, v1, vcc
	v_cmp_ne_u32_e32 vcc, 0, v0
	v_cndmask_b32_e64 v0, 0, 1, vcc
	v_lshl_or_b32 v0, v0, 9, v6
	v_cmp_eq_u32_e32 vcc, s16, v8
	v_cndmask_b32_e32 v8, v1, v0, vcc
	v_cvt_f64_f32_e32 v[0:1], v12
	v_lshrrev_b32_e32 v11, 16, v11
	v_and_or_b32 v8, v11, s10, v8
	v_and_b32_e32 v4, 0xffff, v4
	v_mul_f64 v[0:1], v[0:1], s[14:15]
	v_lshl_or_b32 v4, v8, 16, v4
	v_mov_b32_e32 v8, s2
	v_add_co_u32_e32 v2, vcc, s3, v2
	v_addc_co_u32_e32 v3, vcc, v3, v8, vcc
	global_store_dword v[2:3], v4, off
	v_and_or_b32 v0, v1, s18, v0
	v_cmp_ne_u32_e32 vcc, 0, v0
	v_cndmask_b32_e64 v0, 0, 1, vcc
	v_lshrrev_b32_e32 v4, 8, v1
	v_bfe_u32 v8, v1, 20, 11
	v_and_or_b32 v0, v4, s17, v0
	v_sub_u32_e32 v11, 0x3f1, v8
	v_or_b32_e32 v4, 0x1000, v0
	v_med3_i32 v11, v11, 0, 13
	v_lshrrev_b32_e32 v12, v11, v4
	v_mul_f16_sdwa v5, v5, v14 dst_sel:DWORD dst_unused:UNUSED_PAD src0_sel:DWORD src1_sel:WORD_1
	v_lshlrev_b32_e32 v11, v11, v12
	v_fma_f16 v5, v14, v10, -v5
	v_cmp_ne_u32_e32 vcc, v11, v4
	v_cvt_f32_f16_e32 v5, v5
	v_cndmask_b32_e64 v4, 0, 1, vcc
	v_add_u32_e32 v8, 0xfffffc10, v8
	v_or_b32_e32 v4, v12, v4
	v_lshl_or_b32 v11, v8, 12, v0
	v_cmp_gt_i32_e32 vcc, 1, v8
	v_cndmask_b32_e32 v4, v11, v4, vcc
	v_and_b32_e32 v11, 7, v4
	v_lshrrev_b32_e32 v10, 2, v4
	v_cvt_f64_f32_e32 v[4:5], v5
	v_cmp_lt_i32_e32 vcc, 5, v11
	v_cmp_eq_u32_e64 s[0:1], 3, v11
	s_or_b64 vcc, s[0:1], vcc
	v_mul_f64 v[4:5], v[4:5], s[14:15]
	v_addc_co_u32_e32 v10, vcc, 0, v10, vcc
	v_cmp_gt_i32_e32 vcc, 31, v8
	v_cndmask_b32_e32 v10, v6, v10, vcc
	v_cmp_ne_u32_e32 vcc, 0, v0
	v_cndmask_b32_e64 v0, 0, 1, vcc
	v_lshl_or_b32 v0, v0, 9, v6
	v_cmp_eq_u32_e32 vcc, s16, v8
	v_cndmask_b32_e32 v0, v10, v0, vcc
	v_lshrrev_b32_e32 v1, 16, v1
	v_and_or_b32 v8, v1, s10, v0
	v_and_or_b32 v0, v5, s18, v4
	v_cmp_ne_u32_e32 vcc, 0, v0
	v_cndmask_b32_e64 v0, 0, 1, vcc
	v_lshrrev_b32_e32 v1, 8, v5
	v_and_or_b32 v4, v1, s17, v0
	v_bfe_u32 v1, v5, 20, 11
	v_sub_u32_e32 v10, 0x3f1, v1
	v_or_b32_e32 v0, 0x1000, v4
	v_med3_i32 v10, v10, 0, 13
	v_lshrrev_b32_e32 v11, v10, v0
	v_lshlrev_b32_e32 v10, v10, v11
	v_cmp_ne_u32_e32 vcc, v10, v0
	v_cndmask_b32_e64 v0, 0, 1, vcc
	v_add_u32_e32 v10, 0xfffffc10, v1
	v_or_b32_e32 v0, v11, v0
	v_lshl_or_b32 v1, v10, 12, v4
	v_cmp_gt_i32_e32 vcc, 1, v10
	v_cndmask_b32_e32 v0, v1, v0, vcc
	v_and_b32_e32 v1, 7, v0
	v_cmp_lt_i32_e32 vcc, 5, v1
	v_cmp_eq_u32_e64 s[0:1], 3, v1
	v_lshrrev_b32_e32 v0, 2, v0
	s_or_b64 vcc, s[0:1], vcc
	v_addc_co_u32_e32 v11, vcc, 0, v0, vcc
	ds_read2_b32 v[0:1], v7 offset0:150 offset1:180
	v_cmp_gt_i32_e32 vcc, 31, v10
	v_cndmask_b32_e32 v11, v6, v11, vcc
	v_cmp_ne_u32_e32 vcc, 0, v4
	v_cndmask_b32_e64 v4, 0, 1, vcc
	s_waitcnt lgkmcnt(0)
	v_lshrrev_b32_e32 v12, 16, v0
	s_waitcnt vmcnt(6)
	v_mul_f16_sdwa v13, v12, v15 dst_sel:DWORD dst_unused:UNUSED_PAD src0_sel:DWORD src1_sel:WORD_1
	v_fma_f16 v13, v0, v15, v13
	v_cvt_f32_f16_e32 v13, v13
	v_lshl_or_b32 v4, v4, 9, v6
	v_cmp_eq_u32_e32 vcc, s16, v10
	v_cndmask_b32_e32 v4, v11, v4, vcc
	v_cvt_f64_f32_e32 v[10:11], v13
	v_lshrrev_b32_e32 v5, 16, v5
	v_and_or_b32 v13, v5, s10, v4
	v_add_co_u32_e32 v2, vcc, s3, v2
	v_mul_f64 v[4:5], v[10:11], s[14:15]
	v_mov_b32_e32 v10, s2
	v_and_b32_e32 v8, 0xffff, v8
	v_addc_co_u32_e32 v3, vcc, v3, v10, vcc
	v_lshl_or_b32 v8, v13, 16, v8
	global_store_dword v[2:3], v8, off
	v_mul_f16_sdwa v0, v0, v15 dst_sel:DWORD dst_unused:UNUSED_PAD src0_sel:DWORD src1_sel:WORD_1
	v_and_or_b32 v4, v5, s18, v4
	v_cmp_ne_u32_e32 vcc, 0, v4
	v_cndmask_b32_e64 v4, 0, 1, vcc
	v_lshrrev_b32_e32 v8, 8, v5
	v_bfe_u32 v10, v5, 20, 11
	v_and_or_b32 v4, v8, s17, v4
	v_sub_u32_e32 v11, 0x3f1, v10
	v_or_b32_e32 v8, 0x1000, v4
	v_med3_i32 v11, v11, 0, 13
	v_lshrrev_b32_e32 v13, v11, v8
	v_lshlrev_b32_e32 v11, v11, v13
	v_cmp_ne_u32_e32 vcc, v11, v8
	v_cndmask_b32_e64 v8, 0, 1, vcc
	v_fma_f16 v0, v15, v12, -v0
	v_or_b32_e32 v8, v13, v8
	v_add_u32_e32 v13, 0xfffffc10, v10
	v_cvt_f32_f16_e32 v0, v0
	v_lshl_or_b32 v10, v13, 12, v4
	v_cmp_gt_i32_e32 vcc, 1, v13
	v_cndmask_b32_e32 v8, v10, v8, vcc
	v_and_b32_e32 v10, 7, v8
	v_cmp_lt_i32_e32 vcc, 5, v10
	v_cmp_eq_u32_e64 s[0:1], 3, v10
	v_cvt_f64_f32_e32 v[10:11], v0
	v_lshrrev_b32_e32 v8, 2, v8
	s_or_b64 vcc, s[0:1], vcc
	v_addc_co_u32_e32 v0, vcc, 0, v8, vcc
	v_mul_f64 v[10:11], v[10:11], s[14:15]
	v_cmp_gt_i32_e32 vcc, 31, v13
	v_cndmask_b32_e32 v0, v6, v0, vcc
	v_cmp_ne_u32_e32 vcc, 0, v4
	v_cndmask_b32_e64 v4, 0, 1, vcc
	v_lshl_or_b32 v4, v4, 9, v6
	v_cmp_eq_u32_e32 vcc, s16, v13
	v_cndmask_b32_e32 v0, v0, v4, vcc
	v_lshrrev_b32_e32 v4, 16, v5
	v_and_or_b32 v0, v4, s10, v0
	v_and_or_b32 v4, v11, s18, v10
	v_cmp_ne_u32_e32 vcc, 0, v4
	v_cndmask_b32_e64 v4, 0, 1, vcc
	v_lshrrev_b32_e32 v5, 8, v11
	v_bfe_u32 v8, v11, 20, 11
	v_and_or_b32 v4, v5, s17, v4
	v_sub_u32_e32 v10, 0x3f1, v8
	v_or_b32_e32 v5, 0x1000, v4
	v_med3_i32 v10, v10, 0, 13
	v_lshrrev_b32_e32 v12, v10, v5
	v_lshlrev_b32_e32 v10, v10, v12
	v_cmp_ne_u32_e32 vcc, v10, v5
	v_cndmask_b32_e64 v5, 0, 1, vcc
	v_add_u32_e32 v8, 0xfffffc10, v8
	v_or_b32_e32 v5, v12, v5
	v_lshl_or_b32 v10, v8, 12, v4
	v_cmp_gt_i32_e32 vcc, 1, v8
	v_cndmask_b32_e32 v5, v10, v5, vcc
	v_and_b32_e32 v10, 7, v5
	v_cmp_lt_i32_e32 vcc, 5, v10
	v_cmp_eq_u32_e64 s[0:1], 3, v10
	v_lshrrev_b32_e32 v10, 16, v1
	v_lshrrev_b32_e32 v5, 2, v5
	s_or_b64 vcc, s[0:1], vcc
	s_waitcnt vmcnt(6)
	v_mul_f16_sdwa v12, v10, v16 dst_sel:DWORD dst_unused:UNUSED_PAD src0_sel:DWORD src1_sel:WORD_1
	v_addc_co_u32_e32 v5, vcc, 0, v5, vcc
	v_fma_f16 v12, v1, v16, v12
	v_cmp_gt_i32_e32 vcc, 31, v8
	v_cvt_f32_f16_e32 v12, v12
	v_cndmask_b32_e32 v5, v6, v5, vcc
	v_cmp_ne_u32_e32 vcc, 0, v4
	v_cndmask_b32_e64 v4, 0, 1, vcc
	v_lshl_or_b32 v4, v4, 9, v6
	v_cmp_eq_u32_e32 vcc, s16, v8
	v_cndmask_b32_e32 v8, v5, v4, vcc
	v_cvt_f64_f32_e32 v[4:5], v12
	v_lshrrev_b32_e32 v11, 16, v11
	v_and_or_b32 v8, v11, s10, v8
	v_and_b32_e32 v0, 0xffff, v0
	v_mul_f64 v[4:5], v[4:5], s[14:15]
	v_lshl_or_b32 v0, v8, 16, v0
	v_mov_b32_e32 v8, s2
	v_add_co_u32_e32 v2, vcc, s3, v2
	v_addc_co_u32_e32 v3, vcc, v3, v8, vcc
	global_store_dword v[2:3], v0, off
	v_and_or_b32 v0, v5, s18, v4
	v_cmp_ne_u32_e32 vcc, 0, v0
	v_cndmask_b32_e64 v0, 0, 1, vcc
	v_lshrrev_b32_e32 v4, 8, v5
	v_bfe_u32 v8, v5, 20, 11
	v_and_or_b32 v4, v4, s17, v0
	v_sub_u32_e32 v11, 0x3f1, v8
	v_or_b32_e32 v0, 0x1000, v4
	v_med3_i32 v11, v11, 0, 13
	v_lshrrev_b32_e32 v12, v11, v0
	v_mul_f16_sdwa v1, v1, v16 dst_sel:DWORD dst_unused:UNUSED_PAD src0_sel:DWORD src1_sel:WORD_1
	v_lshlrev_b32_e32 v11, v11, v12
	v_fma_f16 v1, v16, v10, -v1
	v_cmp_ne_u32_e32 vcc, v11, v0
	v_cvt_f32_f16_e32 v1, v1
	v_cndmask_b32_e64 v0, 0, 1, vcc
	v_add_u32_e32 v8, 0xfffffc10, v8
	v_or_b32_e32 v0, v12, v0
	v_lshl_or_b32 v11, v8, 12, v4
	v_cmp_gt_i32_e32 vcc, 1, v8
	v_cndmask_b32_e32 v0, v11, v0, vcc
	v_and_b32_e32 v11, 7, v0
	v_lshrrev_b32_e32 v10, 2, v0
	v_cvt_f64_f32_e32 v[0:1], v1
	v_cmp_lt_i32_e32 vcc, 5, v11
	v_cmp_eq_u32_e64 s[0:1], 3, v11
	s_or_b64 vcc, s[0:1], vcc
	v_mul_f64 v[0:1], v[0:1], s[14:15]
	v_addc_co_u32_e32 v10, vcc, 0, v10, vcc
	v_cmp_gt_i32_e32 vcc, 31, v8
	v_cndmask_b32_e32 v10, v6, v10, vcc
	v_cmp_ne_u32_e32 vcc, 0, v4
	v_cndmask_b32_e64 v4, 0, 1, vcc
	v_lshl_or_b32 v4, v4, 9, v6
	v_cmp_eq_u32_e32 vcc, s16, v8
	v_and_or_b32 v0, v1, s18, v0
	v_cndmask_b32_e32 v4, v10, v4, vcc
	v_lshrrev_b32_e32 v5, 16, v5
	v_cmp_ne_u32_e32 vcc, 0, v0
	v_and_or_b32 v8, v5, s10, v4
	v_cndmask_b32_e64 v0, 0, 1, vcc
	v_lshrrev_b32_e32 v4, 8, v1
	v_bfe_u32 v5, v1, 20, 11
	v_and_or_b32 v0, v4, s17, v0
	v_sub_u32_e32 v10, 0x3f1, v5
	v_or_b32_e32 v4, 0x1000, v0
	v_med3_i32 v10, v10, 0, 13
	v_lshrrev_b32_e32 v11, v10, v4
	v_lshlrev_b32_e32 v10, v10, v11
	v_cmp_ne_u32_e32 vcc, v10, v4
	v_cndmask_b32_e64 v4, 0, 1, vcc
	v_add_u32_e32 v10, 0xfffffc10, v5
	v_or_b32_e32 v4, v11, v4
	v_lshl_or_b32 v5, v10, 12, v0
	v_cmp_gt_i32_e32 vcc, 1, v10
	v_cndmask_b32_e32 v4, v5, v4, vcc
	v_and_b32_e32 v5, 7, v4
	v_cmp_lt_i32_e32 vcc, 5, v5
	v_cmp_eq_u32_e64 s[0:1], 3, v5
	v_lshrrev_b32_e32 v4, 2, v4
	s_or_b64 vcc, s[0:1], vcc
	v_addc_co_u32_e32 v11, vcc, 0, v4, vcc
	v_cmp_gt_i32_e32 vcc, 31, v10
	v_cndmask_b32_e32 v11, v6, v11, vcc
	v_cmp_ne_u32_e32 vcc, 0, v0
	v_cndmask_b32_e64 v0, 0, 1, vcc
	v_lshl_or_b32 v0, v0, 9, v6
	v_cmp_eq_u32_e32 vcc, s16, v10
	v_cndmask_b32_e32 v10, v11, v0, vcc
	v_lshrrev_b32_e32 v11, 16, v1
	v_and_or_b32 v10, v11, s10, v10
	global_load_dword v11, v29, s[6:7] offset:960
	ds_read2_b32 v[4:5], v7 offset0:210 offset1:240
	v_and_b32_e32 v8, 0xffff, v8
	v_lshl_or_b32 v8, v10, 16, v8
	v_mov_b32_e32 v10, s2
	v_add_co_u32_e32 v2, vcc, s3, v2
	s_waitcnt lgkmcnt(0)
	v_lshrrev_b32_e32 v12, 16, v4
	s_waitcnt vmcnt(7)
	v_mul_f16_sdwa v13, v12, v9 dst_sel:DWORD dst_unused:UNUSED_PAD src0_sel:DWORD src1_sel:WORD_1
	v_fma_f16 v13, v4, v9, v13
	v_cvt_f32_f16_e32 v13, v13
	v_addc_co_u32_e32 v3, vcc, v3, v10, vcc
	global_store_dword v[2:3], v8, off
	v_cvt_f64_f32_e32 v[0:1], v13
	v_mul_f16_sdwa v4, v4, v9 dst_sel:DWORD dst_unused:UNUSED_PAD src0_sel:DWORD src1_sel:WORD_1
	v_fma_f16 v4, v9, v12, -v4
	v_cvt_f32_f16_e32 v4, v4
	v_mul_f64 v[0:1], v[0:1], s[14:15]
	v_and_or_b32 v0, v1, s18, v0
	v_cmp_ne_u32_e32 vcc, 0, v0
	v_cndmask_b32_e64 v0, 0, 1, vcc
	v_lshrrev_b32_e32 v8, 8, v1
	v_bfe_u32 v10, v1, 20, 11
	v_and_or_b32 v0, v8, s17, v0
	v_sub_u32_e32 v13, 0x3f1, v10
	v_or_b32_e32 v8, 0x1000, v0
	v_med3_i32 v13, v13, 0, 13
	v_lshrrev_b32_e32 v14, v13, v8
	v_lshlrev_b32_e32 v13, v13, v14
	v_cmp_ne_u32_e32 vcc, v13, v8
	v_cndmask_b32_e64 v8, 0, 1, vcc
	v_add_u32_e32 v10, 0xfffffc10, v10
	v_or_b32_e32 v8, v14, v8
	v_lshl_or_b32 v13, v10, 12, v0
	v_cmp_gt_i32_e32 vcc, 1, v10
	v_cndmask_b32_e32 v8, v13, v8, vcc
	v_and_b32_e32 v13, 7, v8
	v_lshrrev_b32_e32 v12, 2, v8
	v_cvt_f64_f32_e32 v[8:9], v4
	v_cmp_lt_i32_e32 vcc, 5, v13
	v_cmp_eq_u32_e64 s[0:1], 3, v13
	s_or_b64 vcc, s[0:1], vcc
	v_mul_f64 v[8:9], v[8:9], s[14:15]
	v_addc_co_u32_e32 v4, vcc, 0, v12, vcc
	v_cmp_gt_i32_e32 vcc, 31, v10
	v_cndmask_b32_e32 v4, v6, v4, vcc
	v_cmp_ne_u32_e32 vcc, 0, v0
	v_cndmask_b32_e64 v0, 0, 1, vcc
	v_lshl_or_b32 v0, v0, 9, v6
	v_cmp_eq_u32_e32 vcc, s16, v10
	v_cndmask_b32_e32 v0, v4, v0, vcc
	v_lshrrev_b32_e32 v1, 16, v1
	v_and_or_b32 v4, v1, s10, v0
	v_and_or_b32 v0, v9, s18, v8
	v_cmp_ne_u32_e32 vcc, 0, v0
	v_cndmask_b32_e64 v0, 0, 1, vcc
	v_lshrrev_b32_e32 v1, 8, v9
	v_bfe_u32 v8, v9, 20, 11
	v_and_or_b32 v0, v1, s17, v0
	v_sub_u32_e32 v10, 0x3f1, v8
	v_or_b32_e32 v1, 0x1000, v0
	v_med3_i32 v10, v10, 0, 13
	v_lshrrev_b32_e32 v12, v10, v1
	v_lshlrev_b32_e32 v10, v10, v12
	v_cmp_ne_u32_e32 vcc, v10, v1
	v_cndmask_b32_e64 v1, 0, 1, vcc
	v_or_b32_e32 v1, v12, v1
	global_load_dword v12, v29, s[6:7] offset:1080
	global_load_dword v13, v29, s[6:7] offset:1200
	v_add_u32_e32 v8, 0xfffffc10, v8
	v_lshl_or_b32 v10, v8, 12, v0
	v_cmp_gt_i32_e32 vcc, 1, v8
	v_cndmask_b32_e32 v1, v10, v1, vcc
	v_and_b32_e32 v10, 7, v1
	v_cmp_lt_i32_e32 vcc, 5, v10
	v_cmp_eq_u32_e64 s[0:1], 3, v10
	v_lshrrev_b32_e32 v10, 16, v5
	v_lshrrev_b32_e32 v1, 2, v1
	s_or_b64 vcc, s[0:1], vcc
	s_waitcnt vmcnt(3)
	v_mul_f16_sdwa v14, v10, v11 dst_sel:DWORD dst_unused:UNUSED_PAD src0_sel:DWORD src1_sel:WORD_1
	v_addc_co_u32_e32 v1, vcc, 0, v1, vcc
	v_fma_f16 v14, v5, v11, v14
	v_cmp_gt_i32_e32 vcc, 31, v8
	v_cvt_f32_f16_e32 v14, v14
	v_cndmask_b32_e32 v1, v6, v1, vcc
	v_cmp_ne_u32_e32 vcc, 0, v0
	v_cndmask_b32_e64 v0, 0, 1, vcc
	v_lshl_or_b32 v0, v0, 9, v6
	v_cmp_eq_u32_e32 vcc, s16, v8
	v_cndmask_b32_e32 v8, v1, v0, vcc
	v_cvt_f64_f32_e32 v[0:1], v14
	v_lshrrev_b32_e32 v9, 16, v9
	v_and_or_b32 v8, v9, s10, v8
	v_and_b32_e32 v4, 0xffff, v4
	v_mul_f64 v[0:1], v[0:1], s[14:15]
	v_lshl_or_b32 v4, v8, 16, v4
	v_mov_b32_e32 v8, s2
	v_add_co_u32_e32 v2, vcc, s3, v2
	v_addc_co_u32_e32 v3, vcc, v3, v8, vcc
	global_store_dword v[2:3], v4, off
	v_and_or_b32 v0, v1, s18, v0
	v_cmp_ne_u32_e32 vcc, 0, v0
	v_cndmask_b32_e64 v0, 0, 1, vcc
	v_lshrrev_b32_e32 v4, 8, v1
	v_bfe_u32 v8, v1, 20, 11
	v_and_or_b32 v0, v4, s17, v0
	v_sub_u32_e32 v9, 0x3f1, v8
	v_or_b32_e32 v4, 0x1000, v0
	v_med3_i32 v9, v9, 0, 13
	v_lshrrev_b32_e32 v14, v9, v4
	v_lshlrev_b32_e32 v9, v9, v14
	v_mul_f16_sdwa v5, v5, v11 dst_sel:DWORD dst_unused:UNUSED_PAD src0_sel:DWORD src1_sel:WORD_1
	v_cmp_ne_u32_e32 vcc, v9, v4
	v_fma_f16 v5, v11, v10, -v5
	v_cndmask_b32_e64 v4, 0, 1, vcc
	v_add_u32_e32 v8, 0xfffffc10, v8
	v_cvt_f32_f16_e32 v5, v5
	v_or_b32_e32 v4, v14, v4
	v_lshl_or_b32 v9, v8, 12, v0
	v_cmp_gt_i32_e32 vcc, 1, v8
	v_cndmask_b32_e32 v4, v9, v4, vcc
	v_and_b32_e32 v9, 7, v4
	v_cmp_lt_i32_e32 vcc, 5, v9
	v_cmp_eq_u32_e64 s[0:1], 3, v9
	v_lshrrev_b32_e32 v9, 2, v4
	v_cvt_f64_f32_e32 v[4:5], v5
	s_or_b64 vcc, s[0:1], vcc
	v_addc_co_u32_e32 v9, vcc, 0, v9, vcc
	v_mul_f64 v[4:5], v[4:5], s[14:15]
	v_cmp_gt_i32_e32 vcc, 31, v8
	v_cndmask_b32_e32 v9, v6, v9, vcc
	v_cmp_ne_u32_e32 vcc, 0, v0
	v_cndmask_b32_e64 v0, 0, 1, vcc
	v_lshl_or_b32 v0, v0, 9, v6
	v_cmp_eq_u32_e32 vcc, s16, v8
	v_cndmask_b32_e32 v0, v9, v0, vcc
	v_lshrrev_b32_e32 v1, 16, v1
	v_and_or_b32 v9, v1, s10, v0
	v_and_or_b32 v0, v5, s18, v4
	v_cmp_ne_u32_e32 vcc, 0, v0
	v_cndmask_b32_e64 v0, 0, 1, vcc
	v_lshrrev_b32_e32 v1, 8, v5
	v_and_or_b32 v4, v1, s17, v0
	v_bfe_u32 v1, v5, 20, 11
	v_sub_u32_e32 v8, 0x3f1, v1
	v_or_b32_e32 v0, 0x1000, v4
	v_med3_i32 v8, v8, 0, 13
	v_lshrrev_b32_e32 v10, v8, v0
	v_lshlrev_b32_e32 v8, v8, v10
	v_cmp_ne_u32_e32 vcc, v8, v0
	v_cndmask_b32_e64 v0, 0, 1, vcc
	v_add_u32_e32 v8, 0xfffffc10, v1
	v_or_b32_e32 v0, v10, v0
	v_lshl_or_b32 v1, v8, 12, v4
	v_cmp_gt_i32_e32 vcc, 1, v8
	v_cndmask_b32_e32 v0, v1, v0, vcc
	v_and_b32_e32 v1, 7, v0
	v_cmp_lt_i32_e32 vcc, 5, v1
	v_cmp_eq_u32_e64 s[0:1], 3, v1
	v_lshrrev_b32_e32 v0, 2, v0
	s_or_b64 vcc, s[0:1], vcc
	v_addc_co_u32_e32 v10, vcc, 0, v0, vcc
	v_add_u32_e32 v0, 0x400, v7
	ds_read2_b32 v[0:1], v0 offset0:14 offset1:44
	v_cmp_gt_i32_e32 vcc, 31, v8
	v_cndmask_b32_e32 v7, v6, v10, vcc
	v_cmp_ne_u32_e32 vcc, 0, v4
	v_cndmask_b32_e64 v4, 0, 1, vcc
	s_waitcnt lgkmcnt(0)
	v_lshrrev_b32_e32 v10, 16, v0
	s_waitcnt vmcnt(2)
	v_mul_f16_sdwa v11, v10, v12 dst_sel:DWORD dst_unused:UNUSED_PAD src0_sel:DWORD src1_sel:WORD_1
	v_fma_f16 v11, v0, v12, v11
	v_cvt_f32_f16_e32 v11, v11
	v_lshl_or_b32 v4, v4, 9, v6
	v_cmp_eq_u32_e32 vcc, s16, v8
	v_cndmask_b32_e32 v4, v7, v4, vcc
	v_cvt_f64_f32_e32 v[7:8], v11
	v_lshrrev_b32_e32 v5, 16, v5
	v_and_or_b32 v11, v5, s10, v4
	v_add_co_u32_e32 v2, vcc, s3, v2
	v_mul_f64 v[4:5], v[7:8], s[14:15]
	v_mov_b32_e32 v8, s2
	v_and_b32_e32 v9, 0xffff, v9
	v_addc_co_u32_e32 v3, vcc, v3, v8, vcc
	v_lshl_or_b32 v7, v11, 16, v9
	global_store_dword v[2:3], v7, off
	v_mul_f16_sdwa v0, v0, v12 dst_sel:DWORD dst_unused:UNUSED_PAD src0_sel:DWORD src1_sel:WORD_1
	v_and_or_b32 v4, v5, s18, v4
	v_cmp_ne_u32_e32 vcc, 0, v4
	v_cndmask_b32_e64 v4, 0, 1, vcc
	v_lshrrev_b32_e32 v7, 8, v5
	v_bfe_u32 v8, v5, 20, 11
	v_and_or_b32 v4, v7, s17, v4
	v_sub_u32_e32 v9, 0x3f1, v8
	v_or_b32_e32 v7, 0x1000, v4
	v_med3_i32 v9, v9, 0, 13
	v_lshrrev_b32_e32 v11, v9, v7
	v_lshlrev_b32_e32 v9, v9, v11
	v_cmp_ne_u32_e32 vcc, v9, v7
	v_fma_f16 v0, v12, v10, -v0
	v_cndmask_b32_e64 v7, 0, 1, vcc
	v_add_u32_e32 v9, 0xfffffc10, v8
	v_cvt_f32_f16_e32 v0, v0
	v_or_b32_e32 v7, v11, v7
	v_lshl_or_b32 v8, v9, 12, v4
	v_cmp_gt_i32_e32 vcc, 1, v9
	v_cndmask_b32_e32 v7, v8, v7, vcc
	v_and_b32_e32 v8, 7, v7
	v_cmp_lt_i32_e32 vcc, 5, v8
	v_cmp_eq_u32_e64 s[0:1], 3, v8
	v_lshrrev_b32_e32 v10, 2, v7
	v_cvt_f64_f32_e32 v[7:8], v0
	s_or_b64 vcc, s[0:1], vcc
	v_addc_co_u32_e32 v0, vcc, 0, v10, vcc
	v_mul_f64 v[7:8], v[7:8], s[14:15]
	v_cmp_gt_i32_e32 vcc, 31, v9
	v_cndmask_b32_e32 v0, v6, v0, vcc
	v_cmp_ne_u32_e32 vcc, 0, v4
	v_cndmask_b32_e64 v4, 0, 1, vcc
	v_lshl_or_b32 v4, v4, 9, v6
	v_cmp_eq_u32_e32 vcc, s16, v9
	v_cndmask_b32_e32 v0, v0, v4, vcc
	v_lshrrev_b32_e32 v4, 16, v5
	v_and_or_b32 v0, v4, s10, v0
	v_and_or_b32 v4, v8, s18, v7
	v_cmp_ne_u32_e32 vcc, 0, v4
	v_cndmask_b32_e64 v4, 0, 1, vcc
	v_lshrrev_b32_e32 v5, 8, v8
	v_bfe_u32 v7, v8, 20, 11
	v_and_or_b32 v4, v5, s17, v4
	v_sub_u32_e32 v9, 0x3f1, v7
	v_or_b32_e32 v5, 0x1000, v4
	v_med3_i32 v9, v9, 0, 13
	v_lshrrev_b32_e32 v10, v9, v5
	v_lshlrev_b32_e32 v9, v9, v10
	v_cmp_ne_u32_e32 vcc, v9, v5
	v_cndmask_b32_e64 v5, 0, 1, vcc
	v_add_u32_e32 v7, 0xfffffc10, v7
	v_or_b32_e32 v5, v10, v5
	v_lshl_or_b32 v9, v7, 12, v4
	v_cmp_gt_i32_e32 vcc, 1, v7
	v_cndmask_b32_e32 v5, v9, v5, vcc
	v_and_b32_e32 v9, 7, v5
	v_cmp_lt_i32_e32 vcc, 5, v9
	v_cmp_eq_u32_e64 s[0:1], 3, v9
	v_lshrrev_b32_e32 v9, 16, v1
	v_lshrrev_b32_e32 v5, 2, v5
	s_or_b64 vcc, s[0:1], vcc
	s_waitcnt vmcnt(2)
	v_mul_f16_sdwa v10, v9, v13 dst_sel:DWORD dst_unused:UNUSED_PAD src0_sel:DWORD src1_sel:WORD_1
	v_addc_co_u32_e32 v5, vcc, 0, v5, vcc
	v_fma_f16 v10, v1, v13, v10
	v_cmp_gt_i32_e32 vcc, 31, v7
	v_cvt_f32_f16_e32 v10, v10
	v_cndmask_b32_e32 v5, v6, v5, vcc
	v_cmp_ne_u32_e32 vcc, 0, v4
	v_cndmask_b32_e64 v4, 0, 1, vcc
	v_lshl_or_b32 v4, v4, 9, v6
	v_cmp_eq_u32_e32 vcc, s16, v7
	v_cndmask_b32_e32 v7, v5, v4, vcc
	v_cvt_f64_f32_e32 v[4:5], v10
	v_lshrrev_b32_e32 v8, 16, v8
	v_and_or_b32 v7, v8, s10, v7
	v_and_b32_e32 v0, 0xffff, v0
	v_mul_f64 v[4:5], v[4:5], s[14:15]
	v_lshl_or_b32 v0, v7, 16, v0
	v_mov_b32_e32 v7, s2
	v_add_co_u32_e32 v2, vcc, s3, v2
	v_addc_co_u32_e32 v3, vcc, v3, v7, vcc
	global_store_dword v[2:3], v0, off
	v_and_or_b32 v0, v5, s18, v4
	v_cmp_ne_u32_e32 vcc, 0, v0
	v_cndmask_b32_e64 v0, 0, 1, vcc
	v_lshrrev_b32_e32 v4, 8, v5
	v_bfe_u32 v7, v5, 20, 11
	v_and_or_b32 v4, v4, s17, v0
	v_sub_u32_e32 v8, 0x3f1, v7
	v_or_b32_e32 v0, 0x1000, v4
	v_med3_i32 v8, v8, 0, 13
	v_lshrrev_b32_e32 v10, v8, v0
	v_lshlrev_b32_e32 v8, v8, v10
	v_mul_f16_sdwa v1, v1, v13 dst_sel:DWORD dst_unused:UNUSED_PAD src0_sel:DWORD src1_sel:WORD_1
	v_cmp_ne_u32_e32 vcc, v8, v0
	v_fma_f16 v1, v13, v9, -v1
	v_cndmask_b32_e64 v0, 0, 1, vcc
	v_add_u32_e32 v7, 0xfffffc10, v7
	v_cvt_f32_f16_e32 v1, v1
	v_or_b32_e32 v0, v10, v0
	v_lshl_or_b32 v8, v7, 12, v4
	v_cmp_gt_i32_e32 vcc, 1, v7
	v_cndmask_b32_e32 v0, v8, v0, vcc
	v_and_b32_e32 v8, 7, v0
	v_cmp_lt_i32_e32 vcc, 5, v8
	v_cmp_eq_u32_e64 s[0:1], 3, v8
	v_lshrrev_b32_e32 v8, 2, v0
	v_cvt_f64_f32_e32 v[0:1], v1
	s_or_b64 vcc, s[0:1], vcc
	v_addc_co_u32_e32 v8, vcc, 0, v8, vcc
	v_mul_f64 v[0:1], v[0:1], s[14:15]
	v_cmp_gt_i32_e32 vcc, 31, v7
	v_cndmask_b32_e32 v8, v6, v8, vcc
	v_cmp_ne_u32_e32 vcc, 0, v4
	v_cndmask_b32_e64 v4, 0, 1, vcc
	v_lshl_or_b32 v4, v4, 9, v6
	v_cmp_eq_u32_e32 vcc, s16, v7
	v_cndmask_b32_e32 v4, v8, v4, vcc
	v_and_or_b32 v0, v1, s18, v0
	v_lshrrev_b32_e32 v5, 16, v5
	v_cmp_ne_u32_e32 vcc, 0, v0
	v_and_or_b32 v4, v5, s10, v4
	v_cndmask_b32_e64 v0, 0, 1, vcc
	v_lshrrev_b32_e32 v5, 8, v1
	v_bfe_u32 v7, v1, 20, 11
	v_and_or_b32 v0, v5, s17, v0
	v_sub_u32_e32 v8, 0x3f1, v7
	v_or_b32_e32 v5, 0x1000, v0
	v_med3_i32 v8, v8, 0, 13
	v_lshrrev_b32_e32 v9, v8, v5
	v_lshlrev_b32_e32 v8, v8, v9
	v_cmp_ne_u32_e32 vcc, v8, v5
	v_cndmask_b32_e64 v5, 0, 1, vcc
	v_add_u32_e32 v7, 0xfffffc10, v7
	v_or_b32_e32 v5, v9, v5
	v_lshl_or_b32 v8, v7, 12, v0
	v_cmp_gt_i32_e32 vcc, 1, v7
	v_cndmask_b32_e32 v5, v8, v5, vcc
	v_and_b32_e32 v8, 7, v5
	v_cmp_lt_i32_e32 vcc, 5, v8
	v_cmp_eq_u32_e64 s[0:1], 3, v8
	v_lshrrev_b32_e32 v5, 2, v5
	s_or_b64 vcc, s[0:1], vcc
	v_addc_co_u32_e32 v5, vcc, 0, v5, vcc
	v_cmp_gt_i32_e32 vcc, 31, v7
	v_cndmask_b32_e32 v5, v6, v5, vcc
	v_cmp_ne_u32_e32 vcc, 0, v0
	v_cndmask_b32_e64 v0, 0, 1, vcc
	v_lshl_or_b32 v0, v0, 9, v6
	v_cmp_eq_u32_e32 vcc, s16, v7
	v_cndmask_b32_e32 v0, v5, v0, vcc
	v_lshrrev_b32_e32 v1, 16, v1
	v_and_or_b32 v0, v1, s10, v0
	v_and_b32_e32 v1, 0xffff, v4
	v_lshl_or_b32 v4, v0, 16, v1
	v_mov_b32_e32 v1, s2
	v_add_co_u32_e32 v0, vcc, s3, v2
	v_addc_co_u32_e32 v1, vcc, v3, v1, vcc
	global_store_dword v[0:1], v4, off
.LBB0_23:
	s_endpgm
	.section	.rodata,"a",@progbits
	.p2align	6, 0x0
	.amdhsa_kernel bluestein_single_back_len330_dim1_half_op_CI_CI
		.amdhsa_group_segment_fixed_size 3960
		.amdhsa_private_segment_fixed_size 0
		.amdhsa_kernarg_size 104
		.amdhsa_user_sgpr_count 6
		.amdhsa_user_sgpr_private_segment_buffer 1
		.amdhsa_user_sgpr_dispatch_ptr 0
		.amdhsa_user_sgpr_queue_ptr 0
		.amdhsa_user_sgpr_kernarg_segment_ptr 1
		.amdhsa_user_sgpr_dispatch_id 0
		.amdhsa_user_sgpr_flat_scratch_init 0
		.amdhsa_user_sgpr_private_segment_size 0
		.amdhsa_uses_dynamic_stack 0
		.amdhsa_system_sgpr_private_segment_wavefront_offset 0
		.amdhsa_system_sgpr_workgroup_id_x 1
		.amdhsa_system_sgpr_workgroup_id_y 0
		.amdhsa_system_sgpr_workgroup_id_z 0
		.amdhsa_system_sgpr_workgroup_info 0
		.amdhsa_system_vgpr_workitem_id 0
		.amdhsa_next_free_vgpr 132
		.amdhsa_next_free_sgpr 29
		.amdhsa_reserve_vcc 1
		.amdhsa_reserve_flat_scratch 0
		.amdhsa_float_round_mode_32 0
		.amdhsa_float_round_mode_16_64 0
		.amdhsa_float_denorm_mode_32 3
		.amdhsa_float_denorm_mode_16_64 3
		.amdhsa_dx10_clamp 1
		.amdhsa_ieee_mode 1
		.amdhsa_fp16_overflow 0
		.amdhsa_exception_fp_ieee_invalid_op 0
		.amdhsa_exception_fp_denorm_src 0
		.amdhsa_exception_fp_ieee_div_zero 0
		.amdhsa_exception_fp_ieee_overflow 0
		.amdhsa_exception_fp_ieee_underflow 0
		.amdhsa_exception_fp_ieee_inexact 0
		.amdhsa_exception_int_div_zero 0
	.end_amdhsa_kernel
	.text
.Lfunc_end0:
	.size	bluestein_single_back_len330_dim1_half_op_CI_CI, .Lfunc_end0-bluestein_single_back_len330_dim1_half_op_CI_CI
                                        ; -- End function
	.section	.AMDGPU.csdata,"",@progbits
; Kernel info:
; codeLenInByte = 17104
; NumSgprs: 33
; NumVgprs: 132
; ScratchSize: 0
; MemoryBound: 0
; FloatMode: 240
; IeeeMode: 1
; LDSByteSize: 3960 bytes/workgroup (compile time only)
; SGPRBlocks: 4
; VGPRBlocks: 32
; NumSGPRsForWavesPerEU: 33
; NumVGPRsForWavesPerEU: 132
; Occupancy: 1
; WaveLimiterHint : 1
; COMPUTE_PGM_RSRC2:SCRATCH_EN: 0
; COMPUTE_PGM_RSRC2:USER_SGPR: 6
; COMPUTE_PGM_RSRC2:TRAP_HANDLER: 0
; COMPUTE_PGM_RSRC2:TGID_X_EN: 1
; COMPUTE_PGM_RSRC2:TGID_Y_EN: 0
; COMPUTE_PGM_RSRC2:TGID_Z_EN: 0
; COMPUTE_PGM_RSRC2:TIDIG_COMP_CNT: 0
	.type	__hip_cuid_264d269104069965,@object ; @__hip_cuid_264d269104069965
	.section	.bss,"aw",@nobits
	.globl	__hip_cuid_264d269104069965
__hip_cuid_264d269104069965:
	.byte	0                               ; 0x0
	.size	__hip_cuid_264d269104069965, 1

	.ident	"AMD clang version 19.0.0git (https://github.com/RadeonOpenCompute/llvm-project roc-6.4.0 25133 c7fe45cf4b819c5991fe208aaa96edf142730f1d)"
	.section	".note.GNU-stack","",@progbits
	.addrsig
	.addrsig_sym __hip_cuid_264d269104069965
	.amdgpu_metadata
---
amdhsa.kernels:
  - .args:
      - .actual_access:  read_only
        .address_space:  global
        .offset:         0
        .size:           8
        .value_kind:     global_buffer
      - .actual_access:  read_only
        .address_space:  global
        .offset:         8
        .size:           8
        .value_kind:     global_buffer
      - .actual_access:  read_only
        .address_space:  global
        .offset:         16
        .size:           8
        .value_kind:     global_buffer
      - .actual_access:  read_only
        .address_space:  global
        .offset:         24
        .size:           8
        .value_kind:     global_buffer
      - .actual_access:  read_only
        .address_space:  global
        .offset:         32
        .size:           8
        .value_kind:     global_buffer
      - .offset:         40
        .size:           8
        .value_kind:     by_value
      - .address_space:  global
        .offset:         48
        .size:           8
        .value_kind:     global_buffer
      - .address_space:  global
        .offset:         56
        .size:           8
        .value_kind:     global_buffer
      - .address_space:  global
        .offset:         64
        .size:           8
        .value_kind:     global_buffer
      - .address_space:  global
        .offset:         72
        .size:           8
        .value_kind:     global_buffer
      - .offset:         80
        .size:           4
        .value_kind:     by_value
      - .address_space:  global
        .offset:         88
        .size:           8
        .value_kind:     global_buffer
      - .address_space:  global
        .offset:         96
        .size:           8
        .value_kind:     global_buffer
    .group_segment_fixed_size: 3960
    .kernarg_segment_align: 8
    .kernarg_segment_size: 104
    .language:       OpenCL C
    .language_version:
      - 2
      - 0
    .max_flat_workgroup_size: 99
    .name:           bluestein_single_back_len330_dim1_half_op_CI_CI
    .private_segment_fixed_size: 0
    .sgpr_count:     33
    .sgpr_spill_count: 0
    .symbol:         bluestein_single_back_len330_dim1_half_op_CI_CI.kd
    .uniform_work_group_size: 1
    .uses_dynamic_stack: false
    .vgpr_count:     132
    .vgpr_spill_count: 0
    .wavefront_size: 64
amdhsa.target:   amdgcn-amd-amdhsa--gfx906
amdhsa.version:
  - 1
  - 2
...

	.end_amdgpu_metadata
